;; amdgpu-corpus repo=ROCm/rocFFT kind=compiled arch=gfx1201 opt=O3
	.text
	.amdgcn_target "amdgcn-amd-amdhsa--gfx1201"
	.amdhsa_code_object_version 6
	.protected	bluestein_single_back_len864_dim1_dp_op_CI_CI ; -- Begin function bluestein_single_back_len864_dim1_dp_op_CI_CI
	.globl	bluestein_single_back_len864_dim1_dp_op_CI_CI
	.p2align	8
	.type	bluestein_single_back_len864_dim1_dp_op_CI_CI,@function
bluestein_single_back_len864_dim1_dp_op_CI_CI: ; @bluestein_single_back_len864_dim1_dp_op_CI_CI
; %bb.0:
	s_load_b128 s[12:15], s[0:1], 0x28
	v_mul_u32_u24_e32 v1, 0x4be, v0
	s_mov_b32 s2, exec_lo
	v_mov_b32_e32 v6, 0
	s_delay_alu instid0(VALU_DEP_2) | instskip(NEXT) | instid1(VALU_DEP_1)
	v_lshrrev_b32_e32 v1, 16, v1
	v_add_nc_u32_e32 v5, ttmp9, v1
	s_wait_kmcnt 0x0
	s_delay_alu instid0(VALU_DEP_1)
	v_cmpx_gt_u64_e64 s[12:13], v[5:6]
	s_cbranch_execz .LBB0_31
; %bb.1:
	s_clause 0x1
	s_load_b128 s[4:7], s[0:1], 0x18
	s_load_b64 s[12:13], s[0:1], 0x0
	v_mul_lo_u16 v1, v1, 54
	s_movk_i32 s2, 0xfdf6
	s_mov_b32 s3, -1
	v_mov_b32_e32 v6, v5
	s_delay_alu instid0(VALU_DEP_2) | instskip(NEXT) | instid1(VALU_DEP_1)
	v_sub_nc_u16 v2, v0, v1
	v_and_b32_e32 v7, 0xffff, v2
	scratch_store_b64 off, v[6:7], off offset:12 ; 8-byte Folded Spill
	v_or_b32_e32 v9, 0x240, v7
	s_wait_kmcnt 0x0
	s_load_b128 s[8:11], s[4:5], 0x0
	s_wait_kmcnt 0x0
	v_mad_co_u64_u32 v[0:1], null, s10, v5, 0
	v_mad_co_u64_u32 v[3:4], null, s8, v7, 0
	s_mul_u64 s[4:5], s[8:9], 0x120
	s_mul_u64 s[2:3], s[8:9], s[2:3]
	s_delay_alu instid0(SALU_CYCLE_1) | instskip(NEXT) | instid1(VALU_DEP_2)
	s_lshl_b64 s[2:3], s[2:3], 4
	v_mad_co_u64_u32 v[5:6], null, s11, v5, v[1:2]
	v_lshlrev_b32_e32 v44, 4, v7
	s_lshl_b64 s[10:11], s[4:5], 4
	s_mul_i32 s4, s9, 0xfffff160
	s_delay_alu instid0(SALU_CYCLE_1) | instskip(NEXT) | instid1(VALU_DEP_2)
	s_sub_co_i32 s4, s4, s8
	v_mov_b32_e32 v1, v5
	s_clause 0x3
	global_load_b128 v[150:153], v44, s[12:13]
	global_load_b128 v[142:145], v44, s[12:13] offset:864
	global_load_b128 v[146:149], v44, s[12:13] offset:9216
	;; [unrolled: 1-line block ×3, first 2 shown]
	scratch_store_b32 off, v7, off          ; 4-byte Folded Spill
	v_mad_co_u64_u32 v[6:7], null, s9, v7, v[4:5]
	v_mad_co_u64_u32 v[7:8], null, s8, v9, 0
	v_lshlrev_b64_e32 v[0:1], 4, v[0:1]
	s_clause 0x3
	global_load_b128 v[130:133], v44, s[12:13] offset:5472
	global_load_b128 v[134:137], v44, s[12:13] offset:6336
	;; [unrolled: 1-line block ×4, first 2 shown]
	scratch_store_b32 off, v9, off offset:84 ; 4-byte Folded Spill
	global_load_b128 v[158:161], v44, s[12:13] offset:7200
	v_mov_b32_e32 v4, v6
	s_clause 0x1
	global_load_b128 v[162:165], v44, s[12:13] offset:10944
	global_load_b128 v[166:169], v44, s[12:13] offset:11808
	v_mov_b32_e32 v5, v8
	v_add_co_u32 v11, vcc_lo, s14, v0
	v_lshlrev_b64_e32 v[3:4], 4, v[3:4]
	v_add_co_ci_u32_e32 v12, vcc_lo, s15, v1, vcc_lo
	s_delay_alu instid0(VALU_DEP_4)
	v_mad_co_u64_u32 v[0:1], null, s9, v9, v[5:6]
	s_clause 0x1
	global_load_b128 v[174:177], v44, s[12:13] offset:4608
	global_load_b128 v[170:173], v44, s[12:13] offset:3456
	v_add_co_u32 v3, vcc_lo, v11, v3
	s_wait_alu 0xfffd
	v_add_co_ci_u32_e32 v4, vcc_lo, v12, v4, vcc_lo
	s_wait_alu 0xfffe
	s_delay_alu instid0(VALU_DEP_2) | instskip(SKIP_1) | instid1(VALU_DEP_2)
	v_add_co_u32 v9, vcc_lo, v3, s10
	s_wait_alu 0xfffd
	v_add_co_ci_u32_e32 v10, vcc_lo, s11, v4, vcc_lo
	v_mov_b32_e32 v8, v0
	s_delay_alu instid0(VALU_DEP_2) | instskip(NEXT) | instid1(VALU_DEP_1)
	v_mad_co_u64_u32 v[0:1], null, 0xfffff160, s8, v[9:10]
	v_add_nc_u32_e32 v1, s4, v1
	s_delay_alu instid0(VALU_DEP_3) | instskip(NEXT) | instid1(VALU_DEP_1)
	v_lshlrev_b64_e32 v[5:6], 4, v[7:8]
	v_add_co_u32 v15, vcc_lo, v11, v5
	s_wait_alu 0xfffd
	s_delay_alu instid0(VALU_DEP_2)
	v_add_co_ci_u32_e32 v16, vcc_lo, v12, v6, vcc_lo
	v_add_co_u32 v19, vcc_lo, v0, s10
	s_wait_alu 0xfffd
	v_add_co_ci_u32_e32 v20, vcc_lo, s11, v1, vcc_lo
	s_clause 0x1
	global_load_b128 v[3:6], v[3:4], off
	global_load_b128 v[7:10], v[9:10], off
	v_add_co_u32 v23, vcc_lo, v19, s10
	s_wait_alu 0xfffd
	v_add_co_ci_u32_e32 v24, vcc_lo, s11, v20, vcc_lo
	global_load_b128 v[11:14], v[0:1], off
	v_add_co_u32 v0, vcc_lo, v23, s2
	s_wait_alu 0xfffd
	v_add_co_ci_u32_e32 v1, vcc_lo, s3, v24, vcc_lo
	s_clause 0x1
	global_load_b128 v[15:18], v[15:16], off
	global_load_b128 v[19:22], v[19:20], off
	v_add_co_u32 v31, vcc_lo, v0, s10
	s_wait_alu 0xfffd
	v_add_co_ci_u32_e32 v32, vcc_lo, s11, v1, vcc_lo
	global_load_b128 v[27:30], v[0:1], off
	v_add_co_u32 v35, vcc_lo, v31, s10
	s_wait_alu 0xfffd
	v_add_co_ci_u32_e32 v36, vcc_lo, s11, v32, vcc_lo
	global_load_b128 v[23:26], v[23:24], off
	v_add_co_u32 v0, vcc_lo, v35, s2
	s_wait_alu 0xfffd
	v_add_co_ci_u32_e32 v1, vcc_lo, s3, v36, vcc_lo
	global_load_b128 v[31:34], v[31:32], off
	v_add_co_u32 v46, vcc_lo, v0, s10
	s_wait_alu 0xfffd
	v_add_co_ci_u32_e32 v47, vcc_lo, s11, v1, vcc_lo
	global_load_b128 v[39:42], v[0:1], off
	v_add_co_u32 v50, vcc_lo, v46, s10
	s_wait_alu 0xfffd
	v_add_co_ci_u32_e32 v51, vcc_lo, s11, v47, vcc_lo
	global_load_b128 v[46:49], v[46:47], off
	v_add_co_u32 v52, vcc_lo, v50, s2
	s_wait_alu 0xfffd
	v_add_co_ci_u32_e32 v53, vcc_lo, s3, v51, vcc_lo
	global_load_b128 v[35:38], v[35:36], off
	v_add_co_u32 v54, vcc_lo, v52, s10
	s_wait_alu 0xfffd
	v_add_co_ci_u32_e32 v55, vcc_lo, s11, v53, vcc_lo
	global_load_b128 v[60:63], v[50:51], off
	v_add_co_u32 v0, vcc_lo, v54, s10
	s_wait_alu 0xfffd
	v_add_co_ci_u32_e32 v1, vcc_lo, s11, v55, vcc_lo
	global_load_b128 v[64:67], v[52:53], off
	global_load_b128 v[178:181], v44, s[12:13] offset:8064
	global_load_b128 v[68:71], v[54:55], off
	global_load_b128 v[182:185], v44, s[12:13] offset:12672
	global_load_b128 v[72:75], v[0:1], off
	v_cmp_gt_u16_e32 vcc_lo, 18, v2
	s_wait_loadcnt 0x1d
	scratch_store_b128 off, v[150:153], off offset:120 ; 16-byte Folded Spill
	s_wait_loadcnt 0x1c
	scratch_store_b128 off, v[142:145], off offset:88 ; 16-byte Folded Spill
	;; [unrolled: 2-line block ×13, first 2 shown]
	s_wait_loadcnt 0x10
	v_mul_f64_e32 v[50:51], v[5:6], v[152:153]
	v_mul_f64_e32 v[52:53], v[3:4], v[152:153]
	s_wait_loadcnt 0xf
	v_mul_f64_e32 v[58:59], v[9:10], v[176:177]
	v_mul_f64_e32 v[76:77], v[7:8], v[176:177]
	;; [unrolled: 3-line block ×10, first 2 shown]
	v_fma_f64 v[3:4], v[3:4], v[150:151], v[50:51]
	v_fma_f64 v[5:6], v[5:6], v[150:151], -v[52:53]
	v_fma_f64 v[7:8], v[7:8], v[174:175], v[58:59]
	s_wait_loadcnt 0x6
	v_mul_f64_e32 v[98:99], v[37:38], v[164:165]
	v_mul_f64_e32 v[100:101], v[35:36], v[164:165]
	v_fma_f64 v[9:10], v[9:10], v[174:175], -v[76:77]
	v_fma_f64 v[11:12], v[11:12], v[142:143], v[78:79]
	v_fma_f64 v[13:14], v[13:14], v[142:143], -v[80:81]
	s_wait_loadcnt 0x5
	v_mul_f64_e32 v[110:111], v[62:63], v[168:169]
	s_wait_loadcnt 0x4
	v_mul_f64_e32 v[114:115], v[66:67], v[172:173]
	s_wait_loadcnt 0x3
	scratch_store_b128 off, v[178:181], off offset:232 ; 16-byte Folded Spill
	v_mul_f64_e32 v[116:117], v[64:65], v[172:173]
	s_wait_loadcnt 0x2
	v_mul_f64_e32 v[118:119], v[70:71], v[180:181]
	v_mul_f64_e32 v[120:121], v[68:69], v[180:181]
	s_wait_loadcnt 0x0
	v_mul_f64_e32 v[122:123], v[74:75], v[184:185]
	v_mul_f64_e32 v[124:125], v[72:73], v[184:185]
	;; [unrolled: 1-line block ×3, first 2 shown]
	v_fma_f64 v[15:16], v[15:16], v[146:147], v[54:55]
	v_fma_f64 v[17:18], v[17:18], v[146:147], -v[56:57]
	v_fma_f64 v[19:20], v[19:20], v[130:131], v[82:83]
	v_fma_f64 v[21:22], v[21:22], v[130:131], -v[84:85]
	v_fma_f64 v[23:24], v[23:24], v[126:127], v[86:87]
	v_fma_f64 v[25:26], v[25:26], v[126:127], -v[88:89]
	v_fma_f64 v[27:28], v[27:28], v[138:139], v[90:91]
	v_fma_f64 v[29:30], v[29:30], v[138:139], -v[92:93]
	scratch_store_b128 off, v[182:185], off offset:248 ; 16-byte Folded Spill
	v_fma_f64 v[31:32], v[31:32], v[134:135], v[94:95]
	v_fma_f64 v[33:34], v[33:34], v[134:135], -v[96:97]
	s_load_b64 s[8:9], s[0:1], 0x38
	s_load_b128 s[4:7], s[6:7], 0x0
	v_add_co_u32 v50, s14, s12, v44
	v_fma_f64 v[39:40], v[39:40], v[154:155], v[102:103]
	v_fma_f64 v[41:42], v[41:42], v[154:155], -v[104:105]
	s_wait_alu 0xf1ff
	v_add_co_ci_u32_e64 v51, null, s13, 0, s14
	v_fma_f64 v[46:47], v[46:47], v[158:159], v[106:107]
	v_fma_f64 v[48:49], v[48:49], v[158:159], -v[108:109]
	scratch_store_b64 off, v[50:51], off offset:4 ; 8-byte Folded Spill
	v_fma_f64 v[35:36], v[35:36], v[162:163], v[98:99]
	v_fma_f64 v[37:38], v[37:38], v[162:163], -v[100:101]
	v_fma_f64 v[60:61], v[60:61], v[166:167], v[110:111]
	v_fma_f64 v[64:65], v[64:65], v[170:171], v[114:115]
	v_fma_f64 v[66:67], v[66:67], v[170:171], -v[116:117]
	v_fma_f64 v[68:69], v[68:69], v[178:179], v[118:119]
	v_fma_f64 v[70:71], v[70:71], v[178:179], -v[120:121]
	;; [unrolled: 2-line block ×3, first 2 shown]
	v_fma_f64 v[62:63], v[62:63], v[166:167], -v[112:113]
	ds_store_b128 v44, v[3:6]
	ds_store_b128 v44, v[11:14] offset:864
	ds_store_b128 v44, v[15:18] offset:9216
	;; [unrolled: 1-line block ×14, first 2 shown]
	s_and_saveexec_b32 s14, vcc_lo
	s_cbranch_execz .LBB0_3
; %bb.2:
	scratch_load_b64 v[16:17], off, off offset:4 ; 8-byte Folded Reload
	v_add_co_u32 v0, s2, v0, s2
	s_wait_alu 0xf1ff
	v_add_co_ci_u32_e64 v1, s2, s3, v1, s2
	s_delay_alu instid0(VALU_DEP_2) | instskip(SKIP_1) | instid1(VALU_DEP_2)
	v_add_co_u32 v8, s2, v0, s10
	s_wait_alu 0xf1ff
	v_add_co_ci_u32_e64 v9, s2, s11, v1, s2
	global_load_b128 v[0:3], v[0:1], off
	v_add_co_u32 v20, s2, v8, s10
	s_wait_alu 0xf1ff
	v_add_co_ci_u32_e64 v21, s2, s11, v9, s2
	s_wait_loadcnt 0x1
	global_load_b128 v[4:7], v[16:17], off offset:4320
	global_load_b128 v[8:11], v[8:9], off
	s_clause 0x1
	global_load_b128 v[12:15], v[16:17], off offset:8928
	global_load_b128 v[16:19], v[16:17], off offset:13536
	global_load_b128 v[20:23], v[20:21], off
	s_wait_loadcnt 0x4
	v_mul_f64_e32 v[24:25], v[2:3], v[6:7]
	v_mul_f64_e32 v[6:7], v[0:1], v[6:7]
	s_wait_loadcnt 0x2
	v_mul_f64_e32 v[26:27], v[10:11], v[14:15]
	v_mul_f64_e32 v[14:15], v[8:9], v[14:15]
	;; [unrolled: 3-line block ×3, first 2 shown]
	v_fma_f64 v[0:1], v[0:1], v[4:5], v[24:25]
	v_fma_f64 v[2:3], v[2:3], v[4:5], -v[6:7]
	v_fma_f64 v[4:5], v[8:9], v[12:13], v[26:27]
	v_fma_f64 v[6:7], v[10:11], v[12:13], -v[14:15]
	;; [unrolled: 2-line block ×3, first 2 shown]
	ds_store_b128 v44, v[0:3] offset:4320
	ds_store_b128 v44, v[4:7] offset:8928
	;; [unrolled: 1-line block ×3, first 2 shown]
.LBB0_3:
	s_wait_alu 0xfffe
	s_or_b32 exec_lo, exec_lo, s14
	global_wb scope:SCOPE_SE
	s_wait_storecnt_dscnt 0x0
	s_wait_kmcnt 0x0
	s_barrier_signal -1
	s_barrier_wait -1
	global_inv scope:SCOPE_SE
	ds_load_b128 v[24:27], v44
	ds_load_b128 v[20:23], v44 offset:864
	ds_load_b128 v[0:3], v44 offset:9216
	;; [unrolled: 1-line block ×14, first 2 shown]
                                        ; implicit-def: $vgpr64_vgpr65
                                        ; implicit-def: $vgpr84_vgpr85
                                        ; implicit-def: $vgpr80_vgpr81
	s_and_saveexec_b32 s2, vcc_lo
	s_cbranch_execz .LBB0_5
; %bb.4:
	ds_load_b128 v[64:67], v44 offset:4320
	ds_load_b128 v[84:87], v44 offset:8928
	;; [unrolled: 1-line block ×3, first 2 shown]
.LBB0_5:
	s_wait_alu 0xfffe
	s_or_b32 exec_lo, exec_lo, s2
	scratch_load_b32 v128, off, off         ; 4-byte Folded Reload
	s_wait_dscnt 0x4
	v_add_f64_e32 v[42:43], v[88:89], v[0:1]
	v_add_f64_e32 v[46:47], v[90:91], v[2:3]
	;; [unrolled: 1-line block ×6, first 2 shown]
	s_wait_dscnt 0x2
	v_add_f64_e32 v[56:57], v[76:77], v[12:13]
	v_add_f64_e32 v[58:59], v[78:79], v[14:15]
	s_wait_dscnt 0x0
	v_add_f64_e32 v[92:93], v[72:73], v[16:17]
	v_add_f64_e32 v[94:95], v[74:75], v[18:19]
	;; [unrolled: 1-line block ×5, first 2 shown]
	v_add_f64_e64 v[102:103], v[90:91], -v[2:3]
	v_add_f64_e32 v[90:91], v[26:27], v[90:91]
	v_add_f64_e32 v[116:117], v[32:33], v[72:73]
	;; [unrolled: 1-line block ×11, first 2 shown]
	v_add_f64_e64 v[68:69], v[68:69], -v[4:5]
	v_add_f64_e64 v[62:63], v[62:63], -v[10:11]
	;; [unrolled: 1-line block ×5, first 2 shown]
	s_mov_b32 s11, 0xbfebb67a
	global_wb scope:SCOPE_SE
	s_wait_loadcnt 0x0
	s_barrier_signal -1
	s_barrier_wait -1
	global_inv scope:SCOPE_SE
	v_fma_f64 v[24:25], v[42:43], -0.5, v[24:25]
	v_add_f64_e64 v[42:43], v[88:89], -v[0:1]
	v_fma_f64 v[26:27], v[46:47], -0.5, v[26:27]
	v_add_f64_e64 v[46:47], v[70:71], -v[6:7]
	v_fma_f64 v[48:49], v[48:49], -0.5, v[20:21]
	v_fma_f64 v[50:51], v[50:51], -0.5, v[22:23]
	v_fma_f64 v[36:37], v[52:53], -0.5, v[36:37]
	v_add_f64_e64 v[52:53], v[60:61], -v[8:9]
	v_fma_f64 v[38:39], v[54:55], -0.5, v[38:39]
	v_add_f64_e64 v[54:55], v[78:79], -v[14:15]
	v_fma_f64 v[56:57], v[56:57], -0.5, v[28:29]
	v_add_f64_e64 v[70:71], v[76:77], -v[12:13]
	v_fma_f64 v[58:59], v[58:59], -0.5, v[30:31]
	v_fma_f64 v[88:89], v[92:93], -0.5, v[32:33]
	v_add_f64_e64 v[92:93], v[72:73], -v[16:17]
	v_fma_f64 v[94:95], v[94:95], -0.5, v[34:35]
	v_fma_f64 v[124:125], v[96:97], -0.5, v[64:65]
	;; [unrolled: 1-line block ×3, first 2 shown]
	v_add_f64_e32 v[0:1], v[100:101], v[0:1]
	v_add_f64_e32 v[2:3], v[90:91], v[2:3]
	;; [unrolled: 1-line block ×12, first 2 shown]
	v_add_co_u32 v40, s2, v128, 54
	s_wait_alu 0xf1ff
	v_add_co_ci_u32_e64 v41, null, 0, 0, s2
	s_mov_b32 s2, 0xe8584caa
	s_mov_b32 s3, 0x3febb67a
	s_wait_alu 0xfffe
	s_mov_b32 s10, s2
	v_fma_f64 v[16:17], v[102:103], s[2:3], v[24:25]
	s_wait_alu 0xfffe
	v_fma_f64 v[18:19], v[42:43], s[10:11], v[26:27]
	v_fma_f64 v[20:21], v[102:103], s[10:11], v[24:25]
	;; [unrolled: 1-line block ×23, first 2 shown]
	v_mul_lo_u16 v45, v128, 3
	v_add_co_u32 v41, null, 0x6c, v128
	v_add_co_u32 v39, null, 0xa2, v128
	s_delay_alu instid0(VALU_DEP_3) | instskip(SKIP_2) | instid1(VALU_DEP_3)
	v_and_b32_e32 v42, 0xffff, v45
	v_add_co_u32 v38, null, 0xd8, v128
	v_add_co_u32 v36, s2, 0x10e, v128
	v_lshlrev_b32_e32 v45, 4, v42
	v_mul_u32_u24_e32 v43, 3, v40
	v_mul_u32_u24_e32 v42, 3, v41
	ds_store_b128 v45, v[0:3]
	ds_store_b128 v45, v[16:19] offset:16
	v_mul_u32_u24_e32 v0, 3, v39
	v_mul_u32_u24_e32 v1, 3, v38
	s_wait_alu 0xf1ff
	v_add_co_ci_u32_e64 v37, null, 0, 0, s2
	v_lshlrev_b32_e32 v43, 4, v43
	v_lshlrev_b32_e32 v2, 4, v42
	;; [unrolled: 1-line block ×4, first 2 shown]
	v_mul_u32_u24_e32 v1, 3, v36
	scratch_store_b32 off, v45, off offset:284 ; 4-byte Folded Spill
	ds_store_b128 v45, v[20:23] offset:32
	ds_store_b128 v43, v[4:7]
	ds_store_b128 v43, v[24:27] offset:16
	scratch_store_b32 off, v43, off offset:280 ; 4-byte Folded Spill
	ds_store_b128 v43, v[28:31] offset:32
	ds_store_b128 v2, v[8:11]
	ds_store_b128 v2, v[32:35] offset:16
	scratch_store_b32 off, v2, off offset:268 ; 4-byte Folded Spill
	ds_store_b128 v2, v[46:49] offset:32
	ds_store_b128 v3, v[12:15]
	ds_store_b128 v3, v[60:63] offset:16
	s_clause 0x1
	scratch_store_b32 off, v1, off offset:360
	scratch_store_b32 off, v3, off offset:276
	ds_store_b128 v3, v[76:79] offset:32
	ds_store_b128 v0, v[64:67]
	ds_store_b128 v0, v[72:75] offset:16
	scratch_store_b32 off, v0, off offset:272 ; 4-byte Folded Spill
	ds_store_b128 v0, v[68:71] offset:32
	s_and_saveexec_b32 s2, vcc_lo
	s_cbranch_execz .LBB0_7
; %bb.6:
	v_mul_u32_u24_e32 v0, 3, v36
	s_delay_alu instid0(VALU_DEP_1)
	v_lshlrev_b32_e32 v0, 4, v0
	ds_store_b128 v0, v[96:99]
	ds_store_b128 v0, v[120:123] offset:16
	ds_store_b128 v0, v[100:103] offset:32
.LBB0_7:
	s_wait_alu 0xfffe
	s_or_b32 exec_lo, exec_lo, s2
	global_wb scope:SCOPE_SE
	s_wait_storecnt_dscnt 0x0
	s_barrier_signal -1
	s_barrier_wait -1
	global_inv scope:SCOPE_SE
	ds_load_b128 v[140:143], v44
	ds_load_b128 v[136:139], v44 offset:864
	ds_load_b128 v[164:167], v44 offset:2304
	;; [unrolled: 1-line block ×11, first 2 shown]
	scratch_load_b32 v0, off, off           ; 4-byte Folded Reload
	s_load_b64 s[2:3], s[0:1], 0x8
	s_wait_loadcnt 0x0
	v_cmp_gt_u16_e64 s0, 36, v0
	s_delay_alu instid0(VALU_DEP_1)
	s_and_saveexec_b32 s1, s0
	s_cbranch_execz .LBB0_9
; %bb.8:
	ds_load_b128 v[64:67], v44 offset:1728
	ds_load_b128 v[72:75], v44 offset:4032
	;; [unrolled: 1-line block ×6, first 2 shown]
.LBB0_9:
	s_wait_alu 0xfffe
	s_or_b32 exec_lo, exec_lo, s1
	scratch_load_b32 v1, off, off           ; 4-byte Folded Reload
	s_mov_b32 s14, 0xe8584caa
	s_mov_b32 s15, 0x3febb67a
	s_wait_alu 0xfffe
	s_mov_b32 s10, s14
	s_wait_loadcnt 0x0
	v_and_b32_e32 v42, 0xff, v1
	s_delay_alu instid0(VALU_DEP_1) | instskip(NEXT) | instid1(VALU_DEP_1)
	v_mul_lo_u16 v0, 0xab, v42
	v_lshrrev_b16 v20, 9, v0
	s_delay_alu instid0(VALU_DEP_1) | instskip(SKIP_1) | instid1(VALU_DEP_2)
	v_mul_lo_u16 v0, v20, 3
	v_and_b32_e32 v20, 0xffff, v20
	v_sub_nc_u16 v0, v1, v0
	s_delay_alu instid0(VALU_DEP_2) | instskip(NEXT) | instid1(VALU_DEP_2)
	v_mul_u32_u24_e32 v20, 18, v20
	v_and_b32_e32 v21, 0xff, v0
	s_wait_kmcnt 0x0
	s_delay_alu instid0(VALU_DEP_1)
	v_mad_co_u64_u32 v[8:9], null, 0x50, v21, s[2:3]
	s_clause 0x1
	global_load_b128 v[2:5], v[8:9], off offset:32
	global_load_b128 v[80:83], v[8:9], off offset:48
	s_wait_loadcnt_dscnt 0x105
	v_mul_f64_e32 v[0:1], v[78:79], v[4:5]
	scratch_store_b128 off, v[2:5], off offset:288 ; 16-byte Folded Spill
	v_fma_f64 v[34:35], v[76:77], v[2:3], -v[0:1]
	v_mul_f64_e32 v[0:1], v[76:77], v[4:5]
	s_delay_alu instid0(VALU_DEP_1) | instskip(SKIP_1) | instid1(VALU_DEP_1)
	v_fma_f64 v[46:47], v[78:79], v[2:3], v[0:1]
	v_and_b32_e32 v0, 0xff, v40
	v_mul_lo_u16 v0, 0xab, v0
	s_delay_alu instid0(VALU_DEP_1) | instskip(NEXT) | instid1(VALU_DEP_1)
	v_lshrrev_b16 v43, 9, v0
	v_mul_lo_u16 v0, v43, 3
	s_delay_alu instid0(VALU_DEP_1) | instskip(NEXT) | instid1(VALU_DEP_1)
	v_sub_nc_u16 v0, v40, v0
	v_and_b32_e32 v45, 0xff, v0
	s_delay_alu instid0(VALU_DEP_1)
	v_mad_co_u64_u32 v[0:1], null, 0x50, v45, s[2:3]
	s_clause 0x1
	global_load_b128 v[132:135], v[8:9], off offset:64
	global_load_b128 v[76:79], v[0:1], off
	s_wait_loadcnt_dscnt 0x101
	v_mul_f64_e32 v[2:3], v[84:85], v[134:135]
	s_delay_alu instid0(VALU_DEP_1) | instskip(SKIP_1) | instid1(VALU_DEP_1)
	v_fma_f64 v[52:53], v[86:87], v[132:133], v[2:3]
	v_mul_f64_e32 v[2:3], v[86:87], v[134:135]
	v_fma_f64 v[54:55], v[84:85], v[132:133], -v[2:3]
	s_clause 0x1
	global_load_b128 v[124:127], v[0:1], off offset:32
	global_load_b128 v[84:87], v[0:1], off offset:16
	s_wait_loadcnt 0x1
	v_mul_f64_e32 v[2:3], v[90:91], v[126:127]
	s_delay_alu instid0(VALU_DEP_1) | instskip(SKIP_1) | instid1(VALU_DEP_1)
	v_fma_f64 v[56:57], v[88:89], v[124:125], -v[2:3]
	v_mul_f64_e32 v[2:3], v[88:89], v[126:127]
	v_fma_f64 v[58:59], v[90:91], v[124:125], v[2:3]
	s_clause 0x1
	global_load_b128 v[128:131], v[0:1], off offset:64
	global_load_b128 v[88:91], v[0:1], off offset:48
	s_wait_loadcnt_dscnt 0x100
	v_mul_f64_e32 v[0:1], v[92:93], v[130:131]
	s_delay_alu instid0(VALU_DEP_1) | instskip(SKIP_1) | instid1(VALU_DEP_1)
	v_fma_f64 v[60:61], v[94:95], v[128:129], v[0:1]
	v_mul_f64_e32 v[0:1], v[94:95], v[130:131]
	v_fma_f64 v[62:63], v[92:93], v[128:129], -v[0:1]
	v_and_b32_e32 v0, 0xff, v41
	s_delay_alu instid0(VALU_DEP_1) | instskip(NEXT) | instid1(VALU_DEP_1)
	v_mul_lo_u16 v0, 0xab, v0
	v_lshrrev_b16 v170, 9, v0
	s_delay_alu instid0(VALU_DEP_1) | instskip(NEXT) | instid1(VALU_DEP_1)
	v_mul_lo_u16 v0, v170, 3
	v_sub_nc_u16 v0, v41, v0
	s_delay_alu instid0(VALU_DEP_1) | instskip(NEXT) | instid1(VALU_DEP_1)
	v_and_b32_e32 v0, 0xff, v0
	v_mad_co_u64_u32 v[10:11], null, 0x50, v0, s[2:3]
	scratch_store_b32 off, v0, off offset:264 ; 4-byte Folded Spill
	s_clause 0x4
	global_load_b128 v[112:115], v[10:11], off offset:32
	global_load_b128 v[92:95], v[10:11], off offset:48
	;; [unrolled: 1-line block ×3, first 2 shown]
	global_load_b128 v[104:107], v[8:9], off
	global_load_b128 v[108:111], v[8:9], off offset:16
	s_wait_loadcnt 0x4
	v_mul_f64_e32 v[2:3], v[96:97], v[114:115]
	v_mul_f64_e32 v[0:1], v[98:99], v[114:115]
	s_wait_loadcnt 0x1
	v_mul_f64_e32 v[8:9], v[166:167], v[106:107]
	s_wait_loadcnt 0x0
	v_mul_f64_e32 v[12:13], v[154:155], v[110:111]
	v_mul_f64_e32 v[16:17], v[120:121], v[94:95]
	v_fma_f64 v[6:7], v[98:99], v[112:113], v[2:3]
	v_mul_f64_e32 v[2:3], v[100:101], v[118:119]
	v_fma_f64 v[0:1], v[96:97], v[112:113], -v[0:1]
	v_fma_f64 v[168:169], v[164:165], v[104:105], -v[8:9]
	v_mul_f64_e32 v[8:9], v[164:165], v[106:107]
	v_fma_f64 v[16:17], v[122:123], v[92:93], v[16:17]
	v_fma_f64 v[4:5], v[102:103], v[116:117], v[2:3]
	v_mul_f64_e32 v[2:3], v[102:103], v[118:119]
	s_delay_alu instid0(VALU_DEP_4) | instskip(SKIP_1) | instid1(VALU_DEP_3)
	v_fma_f64 v[164:165], v[166:167], v[104:105], v[8:9]
	v_mul_f64_e32 v[8:9], v[162:163], v[78:79]
	v_fma_f64 v[2:3], v[100:101], v[116:117], -v[2:3]
	s_clause 0x1
	global_load_b128 v[96:99], v[10:11], off
	global_load_b128 v[100:103], v[10:11], off offset:16
	global_wb scope:SCOPE_SE
	s_wait_loadcnt 0x0
	s_wait_storecnt 0x0
	v_fma_f64 v[166:167], v[160:161], v[76:77], -v[8:9]
	v_mul_f64_e32 v[8:9], v[160:161], v[78:79]
	s_barrier_signal -1
	s_barrier_wait -1
	global_inv scope:SCOPE_SE
	v_fma_f64 v[160:161], v[162:163], v[76:77], v[8:9]
	v_mul_f64_e32 v[8:9], v[74:75], v[98:99]
	v_mul_f64_e32 v[10:11], v[72:73], v[98:99]
	s_delay_alu instid0(VALU_DEP_2) | instskip(SKIP_2) | instid1(VALU_DEP_4)
	v_fma_f64 v[8:9], v[72:73], v[96:97], -v[8:9]
	v_fma_f64 v[72:73], v[152:153], v[108:109], -v[12:13]
	v_mul_f64_e32 v[12:13], v[152:153], v[110:111]
	v_fma_f64 v[10:11], v[74:75], v[96:97], v[10:11]
	s_delay_alu instid0(VALU_DEP_2) | instskip(SKIP_1) | instid1(VALU_DEP_2)
	v_fma_f64 v[74:75], v[154:155], v[108:109], v[12:13]
	v_mul_f64_e32 v[12:13], v[158:159], v[82:83]
	v_add_f64_e32 v[24:25], v[142:143], v[74:75]
	s_delay_alu instid0(VALU_DEP_2) | instskip(SKIP_1) | instid1(VALU_DEP_2)
	v_fma_f64 v[152:153], v[156:157], v[80:81], -v[12:13]
	v_mul_f64_e32 v[12:13], v[156:157], v[82:83]
	v_add_f64_e32 v[22:23], v[72:73], v[152:153]
	s_delay_alu instid0(VALU_DEP_2) | instskip(SKIP_1) | instid1(VALU_DEP_2)
	v_fma_f64 v[154:155], v[158:159], v[80:81], v[12:13]
	v_mul_f64_e32 v[12:13], v[146:147], v[86:87]
	v_add_f64_e32 v[28:29], v[24:25], v[154:155]
	s_delay_alu instid0(VALU_DEP_2) | instskip(SKIP_1) | instid1(VALU_DEP_1)
	v_fma_f64 v[156:157], v[144:145], v[84:85], -v[12:13]
	v_mul_f64_e32 v[12:13], v[144:145], v[86:87]
	v_fma_f64 v[144:145], v[146:147], v[84:85], v[12:13]
	v_mul_f64_e32 v[12:13], v[150:151], v[90:91]
	s_delay_alu instid0(VALU_DEP_1) | instskip(SKIP_1) | instid1(VALU_DEP_1)
	v_fma_f64 v[146:147], v[148:149], v[88:89], -v[12:13]
	v_mul_f64_e32 v[12:13], v[148:149], v[90:91]
	v_fma_f64 v[148:149], v[150:151], v[88:89], v[12:13]
	v_mul_f64_e32 v[12:13], v[70:71], v[102:103]
	s_delay_alu instid0(VALU_DEP_1) | instskip(SKIP_1) | instid1(VALU_DEP_1)
	v_fma_f64 v[14:15], v[68:69], v[100:101], -v[12:13]
	v_mul_f64_e32 v[12:13], v[68:69], v[102:103]
	v_fma_f64 v[18:19], v[70:71], v[100:101], v[12:13]
	v_mul_f64_e32 v[12:13], v[122:123], v[94:95]
	s_delay_alu instid0(VALU_DEP_1) | instskip(SKIP_2) | instid1(VALU_DEP_1)
	v_fma_f64 v[12:13], v[120:121], v[92:93], -v[12:13]
	v_fma_f64 v[120:121], v[22:23], -0.5, v[140:141]
	v_add_f64_e32 v[22:23], v[74:75], v[154:155]
	v_fma_f64 v[122:123], v[22:23], -0.5, v[142:143]
	v_add_f64_e32 v[22:23], v[140:141], v[72:73]
	s_delay_alu instid0(VALU_DEP_1) | instskip(SKIP_1) | instid1(VALU_DEP_1)
	v_add_f64_e32 v[26:27], v[22:23], v[152:153]
	v_add_f64_e32 v[22:23], v[168:169], v[34:35]
	;; [unrolled: 1-line block ×4, first 2 shown]
	s_delay_alu instid0(VALU_DEP_1) | instskip(NEXT) | instid1(VALU_DEP_3)
	v_add_f64_e32 v[32:33], v[22:23], v[52:53]
	v_add_f64_e32 v[22:23], v[26:27], v[30:31]
	v_add_f64_e64 v[26:27], v[26:27], -v[30:31]
	v_add_f64_e32 v[30:31], v[156:157], v[146:147]
	s_delay_alu instid0(VALU_DEP_4) | instskip(SKIP_2) | instid1(VALU_DEP_4)
	v_add_f64_e32 v[24:25], v[28:29], v[32:33]
	v_add_f64_e64 v[28:29], v[28:29], -v[32:33]
	v_add_f64_e32 v[32:33], v[138:139], v[144:145]
	v_fma_f64 v[150:151], v[30:31], -0.5, v[136:137]
	v_add_f64_e32 v[30:31], v[144:145], v[148:149]
	s_delay_alu instid0(VALU_DEP_3) | instskip(NEXT) | instid1(VALU_DEP_2)
	v_add_f64_e32 v[50:51], v[32:33], v[148:149]
	v_fma_f64 v[158:159], v[30:31], -0.5, v[138:139]
	v_add_f64_e32 v[30:31], v[136:137], v[156:157]
	v_add_f64_e64 v[136:137], v[72:73], -v[152:153]
	s_delay_alu instid0(VALU_DEP_2) | instskip(SKIP_2) | instid1(VALU_DEP_3)
	v_add_f64_e32 v[48:49], v[30:31], v[146:147]
	v_add_f64_e32 v[30:31], v[166:167], v[56:57]
	s_wait_alu 0xfffe
	v_fma_f64 v[142:143], v[136:137], s[10:11], v[122:123]
	s_delay_alu instid0(VALU_DEP_2) | instskip(SKIP_1) | instid1(VALU_DEP_1)
	v_add_f64_e32 v[68:69], v[30:31], v[62:63]
	v_add_f64_e32 v[30:31], v[160:161], v[58:59]
	;; [unrolled: 1-line block ×3, first 2 shown]
	s_delay_alu instid0(VALU_DEP_3)
	v_add_f64_e32 v[30:31], v[48:49], v[68:69]
	v_add_f64_e64 v[48:49], v[48:49], -v[68:69]
	v_add_f64_e32 v[68:69], v[34:35], v[54:55]
	v_add_f64_e64 v[34:35], v[34:35], -v[54:55]
	;; [unrolled: 2-line block ×3, first 2 shown]
	v_add_f64_e64 v[52:53], v[74:75], -v[154:155]
	v_add_f64_e32 v[32:33], v[50:51], v[70:71]
	v_add_f64_e64 v[50:51], v[50:51], -v[70:71]
	v_fma_f64 v[138:139], v[68:69], -0.5, v[168:169]
	v_fma_f64 v[54:55], v[54:55], -0.5, v[164:165]
	v_fma_f64 v[140:141], v[52:53], s[14:15], v[120:121]
	v_fma_f64 v[52:53], v[52:53], s[10:11], v[120:121]
	s_delay_alu instid0(VALU_DEP_4) | instskip(SKIP_4) | instid1(VALU_DEP_4)
	v_fma_f64 v[70:71], v[46:47], s[14:15], v[138:139]
	v_fma_f64 v[46:47], v[46:47], s[10:11], v[138:139]
	;; [unrolled: 1-line block ×5, first 2 shown]
	v_mul_f64_e32 v[120:121], -0.5, v[46:47]
	s_delay_alu instid0(VALU_DEP_4) | instskip(NEXT) | instid1(VALU_DEP_2)
	v_mul_f64_e32 v[72:73], s[14:15], v[68:69]
	v_fma_f64 v[136:137], v[34:35], s[14:15], v[120:121]
	v_mul_f64_e32 v[34:35], -0.5, v[34:35]
	s_delay_alu instid0(VALU_DEP_3) | instskip(SKIP_1) | instid1(VALU_DEP_4)
	v_fma_f64 v[72:73], v[70:71], 0.5, v[72:73]
	v_mul_f64_e32 v[70:71], s[10:11], v[70:71]
	v_add_f64_e32 v[120:121], v[52:53], v[136:137]
	s_delay_alu instid0(VALU_DEP_4)
	v_fma_f64 v[34:35], v[46:47], s[10:11], v[34:35]
	v_add_f64_e64 v[136:137], v[52:53], -v[136:137]
	v_add_f64_e32 v[52:53], v[58:59], v[60:61]
	v_add_f64_e64 v[46:47], v[56:57], -v[62:63]
	v_fma_f64 v[74:75], v[68:69], 0.5, v[70:71]
	v_add_f64_e32 v[68:69], v[140:141], v[72:73]
	v_add_f64_e64 v[72:73], v[140:141], -v[72:73]
	v_add_f64_e32 v[122:123], v[54:55], v[34:35]
	v_add_f64_e64 v[138:139], v[54:55], -v[34:35]
	v_add_f64_e32 v[34:35], v[56:57], v[62:63]
	v_fma_f64 v[52:53], v[52:53], -0.5, v[160:161]
	v_add_f64_e64 v[54:55], v[58:59], -v[60:61]
	v_add_f64_e64 v[56:57], v[144:145], -v[148:149]
	;; [unrolled: 1-line block ×3, first 2 shown]
	v_add_f64_e32 v[70:71], v[142:143], v[74:75]
	v_add_f64_e64 v[74:75], v[142:143], -v[74:75]
	v_fma_f64 v[34:35], v[34:35], -0.5, v[166:167]
	v_fma_f64 v[60:61], v[46:47], s[10:11], v[52:53]
	v_fma_f64 v[46:47], v[46:47], s[14:15], v[52:53]
	;; [unrolled: 1-line block ×5, first 2 shown]
	v_mul_f64_e32 v[140:141], s[14:15], v[60:61]
	v_fma_f64 v[34:35], v[54:55], s[10:11], v[34:35]
	v_fma_f64 v[54:55], v[58:59], s[14:15], v[158:159]
	s_delay_alu instid0(VALU_DEP_3) | instskip(SKIP_1) | instid1(VALU_DEP_1)
	v_fma_f64 v[144:145], v[62:63], 0.5, v[140:141]
	v_mul_f64_e32 v[62:63], s[10:11], v[62:63]
	v_fma_f64 v[60:61], v[60:61], 0.5, v[62:63]
	v_fma_f64 v[62:63], v[56:57], s[14:15], v[150:151]
	v_mul_f64_e32 v[56:57], -0.5, v[34:35]
	s_delay_alu instid0(VALU_DEP_3) | instskip(NEXT) | instid1(VALU_DEP_3)
	v_add_f64_e32 v[142:143], v[146:147], v[60:61]
	v_add_f64_e32 v[140:141], v[62:63], v[144:145]
	s_delay_alu instid0(VALU_DEP_3) | instskip(SKIP_3) | instid1(VALU_DEP_4)
	v_fma_f64 v[56:57], v[46:47], s[14:15], v[56:57]
	v_mul_f64_e32 v[46:47], -0.5, v[46:47]
	v_add_f64_e64 v[144:145], v[62:63], -v[144:145]
	v_add_f64_e64 v[146:147], v[146:147], -v[60:61]
	;; [unrolled: 1-line block ×3, first 2 shown]
	s_delay_alu instid0(VALU_DEP_4)
	v_fma_f64 v[34:35], v[34:35], s[10:11], v[46:47]
	v_add_f64_e32 v[148:149], v[52:53], v[56:57]
	v_add_lshl_u32 v47, v20, v21, 4
	v_and_b32_e32 v20, 0xffff, v43
	ds_store_b128 v47, v[22:25]
	ds_store_b128 v47, v[68:71] offset:48
	ds_store_b128 v47, v[26:29] offset:144
	;; [unrolled: 1-line block ×5, first 2 shown]
	v_mul_u32_u24_e32 v20, 18, v20
	v_and_b32_e32 v43, 0xffff, v170
	v_add_f64_e64 v[22:23], v[6:7], -v[4:5]
	v_add_f64_e64 v[24:25], v[18:19], -v[16:17]
	s_delay_alu instid0(VALU_DEP_4)
	v_add_lshl_u32 v20, v20, v45, 4
	v_add_f64_e64 v[154:155], v[54:55], -v[34:35]
	v_add_f64_e32 v[150:151], v[54:55], v[34:35]
	ds_store_b128 v20, v[30:33]
	ds_store_b128 v20, v[140:143] offset:48
	ds_store_b128 v20, v[148:151] offset:96
	;; [unrolled: 1-line block ×4, first 2 shown]
	s_clause 0x1
	scratch_store_b32 off, v20, off offset:356
	scratch_store_b32 off, v43, off offset:352
	ds_store_b128 v20, v[152:155] offset:240
	v_add_f64_e32 v[20:21], v[0:1], v[2:3]
	v_add_f64_e64 v[30:31], v[14:15], -v[12:13]
	s_delay_alu instid0(VALU_DEP_2) | instskip(NEXT) | instid1(VALU_DEP_1)
	v_fma_f64 v[20:21], v[20:21], -0.5, v[8:9]
	v_fma_f64 v[34:35], v[22:23], s[10:11], v[20:21]
	v_fma_f64 v[28:29], v[22:23], s[14:15], v[20:21]
	v_add_f64_e32 v[20:21], v[6:7], v[4:5]
	v_add_f64_e64 v[22:23], v[0:1], -v[2:3]
	s_delay_alu instid0(VALU_DEP_2) | instskip(NEXT) | instid1(VALU_DEP_1)
	v_fma_f64 v[20:21], v[20:21], -0.5, v[10:11]
	v_fma_f64 v[32:33], v[22:23], s[10:11], v[20:21]
	v_fma_f64 v[48:49], v[22:23], s[14:15], v[20:21]
	v_add_f64_e32 v[20:21], v[14:15], v[12:13]
	s_delay_alu instid0(VALU_DEP_1) | instskip(NEXT) | instid1(VALU_DEP_1)
	v_fma_f64 v[22:23], v[20:21], -0.5, v[64:65]
	v_fma_f64 v[20:21], v[24:25], s[14:15], v[22:23]
	v_fma_f64 v[24:25], v[24:25], s[10:11], v[22:23]
	v_add_f64_e32 v[22:23], v[18:19], v[16:17]
	s_delay_alu instid0(VALU_DEP_1) | instskip(NEXT) | instid1(VALU_DEP_1)
	v_fma_f64 v[22:23], v[22:23], -0.5, v[66:67]
	v_fma_f64 v[26:27], v[30:31], s[10:11], v[22:23]
	v_fma_f64 v[30:31], v[30:31], s[14:15], v[22:23]
	v_mul_f64_e32 v[22:23], s[14:15], v[32:33]
	s_delay_alu instid0(VALU_DEP_1) | instskip(SKIP_1) | instid1(VALU_DEP_2)
	v_fma_f64 v[22:23], v[28:29], 0.5, v[22:23]
	v_mul_f64_e32 v[28:29], s[10:11], v[28:29]
	v_add_f64_e64 v[228:229], v[20:21], -v[22:23]
	s_delay_alu instid0(VALU_DEP_2) | instskip(SKIP_1) | instid1(VALU_DEP_2)
	v_fma_f64 v[32:33], v[32:33], 0.5, v[28:29]
	v_mul_f64_e32 v[28:29], -0.5, v[34:35]
	v_add_f64_e64 v[230:231], v[26:27], -v[32:33]
	s_delay_alu instid0(VALU_DEP_2) | instskip(SKIP_1) | instid1(VALU_DEP_2)
	v_fma_f64 v[28:29], v[48:49], s[14:15], v[28:29]
	v_mul_f64_e32 v[48:49], -0.5, v[48:49]
	v_add_f64_e64 v[232:233], v[24:25], -v[28:29]
	s_delay_alu instid0(VALU_DEP_2) | instskip(NEXT) | instid1(VALU_DEP_1)
	v_fma_f64 v[34:35], v[34:35], s[10:11], v[48:49]
	v_add_f64_e64 v[234:235], v[30:31], -v[34:35]
	s_and_saveexec_b32 s1, s0
	s_cbranch_execz .LBB0_11
; %bb.10:
	v_add_f64_e32 v[18:19], v[66:67], v[18:19]
	v_add_f64_e32 v[6:7], v[10:11], v[6:7]
	;; [unrolled: 1-line block ×4, first 2 shown]
	s_delay_alu instid0(VALU_DEP_4) | instskip(NEXT) | instid1(VALU_DEP_4)
	v_add_f64_e32 v[14:15], v[18:19], v[16:17]
	v_add_f64_e32 v[16:17], v[6:7], v[4:5]
	s_delay_alu instid0(VALU_DEP_4) | instskip(NEXT) | instid1(VALU_DEP_4)
	v_add_f64_e32 v[12:13], v[10:11], v[12:13]
	v_add_f64_e32 v[18:19], v[0:1], v[2:3]
	;; [unrolled: 1-line block ×7, first 2 shown]
	v_add_f64_e64 v[14:15], v[14:15], -v[16:17]
	s_clause 0x1
	scratch_load_b32 v16, off, off offset:352
	scratch_load_b32 v17, off, off offset:264
	v_add_f64_e32 v[8:9], v[12:13], v[18:19]
	v_add_f64_e64 v[12:13], v[12:13], -v[18:19]
	s_wait_loadcnt 0x1
	v_mul_u32_u24_e32 v16, 18, v16
	s_wait_loadcnt 0x0
	s_delay_alu instid0(VALU_DEP_1)
	v_add_lshl_u32 v16, v16, v17, 4
	ds_store_b128 v16, v[8:11]
	ds_store_b128 v16, v[4:7] offset:48
	ds_store_b128 v16, v[0:3] offset:96
	;; [unrolled: 1-line block ×5, first 2 shown]
.LBB0_11:
	s_wait_alu 0xfffe
	s_or_b32 exec_lo, exec_lo, s1
	scratch_load_b32 v1, off, off           ; 4-byte Folded Reload
	v_mul_lo_u16 v0, v42, 57
	global_wb scope:SCOPE_SE
	s_wait_storecnt 0x0
	s_wait_loadcnt_dscnt 0x0
	s_barrier_signal -1
	s_barrier_wait -1
	global_inv scope:SCOPE_SE
	v_lshrrev_b16 v4, 10, v0
	s_mov_b32 s10, 0x667f3bcd
	s_mov_b32 s11, 0xbfe6a09e
	s_mov_b32 s15, 0x3fe6a09e
	s_wait_alu 0xfffe
	s_mov_b32 s14, s10
	v_mul_lo_u16 v0, v4, 18
	s_mov_b32 s16, 0xcf328d46
	s_mov_b32 s17, 0xbfed906b
	s_mov_b32 s23, 0x3fed906b
	s_mov_b32 s22, s16
	s_mov_b32 s18, 0xa6aea964
	s_mov_b32 s19, 0xbfd87de2
	s_mov_b32 s21, 0x3fd87de2
	s_mov_b32 s20, s18
	v_and_b32_e32 v4, 0xffff, v4
	s_delay_alu instid0(VALU_DEP_1) | instskip(SKIP_1) | instid1(VALU_DEP_1)
	v_mul_u32_u24_e32 v4, 0x120, v4
	v_sub_nc_u16 v0, v1, v0
	v_and_b32_e32 v5, 0xff, v0
	s_delay_alu instid0(VALU_DEP_1) | instskip(NEXT) | instid1(VALU_DEP_4)
	v_mad_co_u64_u32 v[26:27], null, 0xf0, v5, s[2:3]
	v_or_b32_e32 v4, v4, v5
	s_clause 0x3
	global_load_b128 v[30:33], v[26:27], off offset:240
	global_load_b128 v[52:55], v[26:27], off offset:256
	;; [unrolled: 1-line block ×4, first 2 shown]
	ds_load_b128 v[0:3], v44 offset:864
	ds_load_b128 v[6:9], v44
	ds_load_b128 v[10:13], v44 offset:1728
	ds_load_b128 v[14:17], v44 offset:2592
	s_wait_loadcnt_dscnt 0x303
	v_mul_f64_e32 v[18:19], v[2:3], v[32:33]
	v_mul_f64_e32 v[20:21], v[0:1], v[32:33]
	s_wait_loadcnt_dscnt 0x201
	v_mul_f64_e32 v[22:23], v[12:13], v[54:55]
	s_clause 0x1
	scratch_store_b128 off, v[30:33], off offset:336
	scratch_store_b128 off, v[52:55], off offset:320
	s_wait_loadcnt 0x1
	scratch_store_b128 off, v[48:51], off offset:304 ; 16-byte Folded Spill
	v_fma_f64 v[28:29], v[0:1], v[30:31], -v[18:19]
	v_mul_f64_e32 v[0:1], v[10:11], v[54:55]
	v_fma_f64 v[30:31], v[2:3], v[30:31], v[20:21]
	s_wait_dscnt 0x0
	v_mul_f64_e32 v[2:3], v[16:17], v[50:51]
	v_fma_f64 v[32:33], v[10:11], v[52:53], -v[22:23]
	s_delay_alu instid0(VALU_DEP_4) | instskip(SKIP_1) | instid1(VALU_DEP_4)
	v_fma_f64 v[34:35], v[12:13], v[52:53], v[0:1]
	v_mul_f64_e32 v[0:1], v[14:15], v[50:51]
	v_fma_f64 v[42:43], v[14:15], v[48:49], -v[2:3]
	s_delay_alu instid0(VALU_DEP_2)
	v_fma_f64 v[48:49], v[16:17], v[48:49], v[0:1]
	ds_load_b128 v[0:3], v44 offset:3456
	ds_load_b128 v[10:13], v44 offset:4320
	s_clause 0x1
	global_load_b128 v[164:167], v[26:27], off offset:304
	global_load_b128 v[148:151], v[26:27], off offset:320
	s_wait_loadcnt_dscnt 0x201
	v_mul_f64_e32 v[14:15], v[2:3], v[122:123]
	s_delay_alu instid0(VALU_DEP_1) | instskip(SKIP_1) | instid1(VALU_DEP_1)
	v_fma_f64 v[50:51], v[0:1], v[120:121], -v[14:15]
	v_mul_f64_e32 v[0:1], v[0:1], v[122:123]
	v_fma_f64 v[52:53], v[2:3], v[120:121], v[0:1]
	s_wait_loadcnt_dscnt 0x100
	v_mul_f64_e32 v[0:1], v[12:13], v[166:167]
	s_delay_alu instid0(VALU_DEP_1) | instskip(SKIP_1) | instid1(VALU_DEP_1)
	v_fma_f64 v[54:55], v[10:11], v[164:165], -v[0:1]
	v_mul_f64_e32 v[0:1], v[10:11], v[166:167]
	v_fma_f64 v[56:57], v[12:13], v[164:165], v[0:1]
	ds_load_b128 v[0:3], v44 offset:5184
	ds_load_b128 v[10:13], v44 offset:6048
	s_clause 0x1
	global_load_b128 v[168:171], v[26:27], off offset:336
	global_load_b128 v[152:155], v[26:27], off offset:352
	s_wait_loadcnt_dscnt 0x201
	v_mul_f64_e32 v[14:15], v[2:3], v[150:151]
	s_delay_alu instid0(VALU_DEP_1) | instskip(SKIP_1) | instid1(VALU_DEP_1)
	v_fma_f64 v[58:59], v[0:1], v[148:149], -v[14:15]
	v_mul_f64_e32 v[0:1], v[0:1], v[150:151]
	v_fma_f64 v[60:61], v[2:3], v[148:149], v[0:1]
	s_wait_loadcnt_dscnt 0x100
	v_mul_f64_e32 v[0:1], v[12:13], v[170:171]
	s_delay_alu instid0(VALU_DEP_1) | instskip(SKIP_1) | instid1(VALU_DEP_1)
	v_fma_f64 v[62:63], v[10:11], v[168:169], -v[0:1]
	v_mul_f64_e32 v[0:1], v[10:11], v[170:171]
	v_fma_f64 v[136:137], v[12:13], v[168:169], v[0:1]
	ds_load_b128 v[0:3], v44 offset:6912
	ds_load_b128 v[10:13], v44 offset:7776
	global_load_b128 v[172:175], v[26:27], off offset:416
	s_wait_loadcnt_dscnt 0x101
	v_mul_f64_e32 v[14:15], v[2:3], v[154:155]
	s_delay_alu instid0(VALU_DEP_1) | instskip(SKIP_1) | instid1(VALU_DEP_1)
	v_fma_f64 v[138:139], v[0:1], v[152:153], -v[14:15]
	v_mul_f64_e32 v[0:1], v[0:1], v[154:155]
	v_fma_f64 v[140:141], v[2:3], v[152:153], v[0:1]
	ds_load_b128 v[0:3], v44 offset:10368
	ds_load_b128 v[14:17], v44 offset:11232
	s_clause 0x1
	global_load_b128 v[144:147], v[26:27], off offset:400
	global_load_b128 v[176:179], v[26:27], off offset:384
	s_wait_loadcnt_dscnt 0x201
	v_mul_f64_e32 v[18:19], v[2:3], v[174:175]
	s_delay_alu instid0(VALU_DEP_1) | instskip(SKIP_1) | instid1(VALU_DEP_1)
	v_fma_f64 v[142:143], v[0:1], v[172:173], -v[18:19]
	v_mul_f64_e32 v[0:1], v[0:1], v[174:175]
	v_fma_f64 v[188:189], v[2:3], v[172:173], v[0:1]
	ds_load_b128 v[0:3], v44 offset:8640
	ds_load_b128 v[18:21], v44 offset:9504
	s_clause 0x2
	global_load_b128 v[156:159], v[26:27], off offset:368
	global_load_b128 v[180:183], v[26:27], off offset:448
	global_load_b128 v[160:163], v[26:27], off offset:432
	s_wait_loadcnt_dscnt 0x301
	v_mul_f64_e32 v[22:23], v[2:3], v[178:179]
	s_delay_alu instid0(VALU_DEP_1) | instskip(SKIP_1) | instid1(VALU_DEP_1)
	v_fma_f64 v[190:191], v[0:1], v[176:177], -v[22:23]
	v_mul_f64_e32 v[0:1], v[0:1], v[178:179]
	v_fma_f64 v[192:193], v[2:3], v[176:177], v[0:1]
	ds_load_b128 v[0:3], v44 offset:12096
	ds_load_b128 v[22:25], v44 offset:12960
	s_wait_loadcnt_dscnt 0x101
	v_mul_f64_e32 v[184:185], v[2:3], v[182:183]
	s_delay_alu instid0(VALU_DEP_1)
	v_fma_f64 v[194:195], v[0:1], v[180:181], -v[184:185]
	global_load_b128 v[184:187], v[26:27], off offset:464
	v_mul_f64_e32 v[0:1], v[0:1], v[182:183]
	v_add_f64_e64 v[26:27], v[52:53], -v[188:189]
	v_add_f64_e64 v[188:189], v[34:35], -v[192:193]
	global_wb scope:SCOPE_SE
	s_wait_storecnt 0x0
	s_wait_loadcnt_dscnt 0x0
	s_barrier_signal -1
	s_barrier_wait -1
	global_inv scope:SCOPE_SE
	v_fma_f64 v[196:197], v[2:3], v[180:181], v[0:1]
	v_mul_f64_e32 v[0:1], v[12:13], v[158:159]
	v_add_f64_e64 v[2:3], v[8:9], -v[140:141]
	v_fma_f64 v[34:35], v[34:35], 2.0, -v[188:189]
	s_delay_alu instid0(VALU_DEP_4) | instskip(NEXT) | instid1(VALU_DEP_4)
	v_add_f64_e64 v[192:193], v[60:61], -v[196:197]
	v_fma_f64 v[198:199], v[10:11], v[156:157], -v[0:1]
	v_mul_f64_e32 v[0:1], v[10:11], v[158:159]
	v_fma_f64 v[140:141], v[8:9], 2.0, -v[2:3]
	v_fma_f64 v[8:9], v[52:53], 2.0, -v[26:27]
	s_delay_alu instid0(VALU_DEP_3) | instskip(SKIP_1) | instid1(VALU_DEP_2)
	v_fma_f64 v[10:11], v[12:13], v[156:157], v[0:1]
	v_mul_f64_e32 v[0:1], v[16:17], v[162:163]
	v_add_f64_e64 v[196:197], v[30:31], -v[10:11]
	s_delay_alu instid0(VALU_DEP_2) | instskip(SKIP_1) | instid1(VALU_DEP_3)
	v_fma_f64 v[12:13], v[14:15], v[160:161], -v[0:1]
	v_mul_f64_e32 v[0:1], v[14:15], v[162:163]
	v_fma_f64 v[30:31], v[30:31], 2.0, -v[196:197]
	s_delay_alu instid0(VALU_DEP_2) | instskip(SKIP_1) | instid1(VALU_DEP_2)
	v_fma_f64 v[14:15], v[16:17], v[160:161], v[0:1]
	v_mul_f64_e32 v[0:1], v[20:21], v[146:147]
	v_add_f64_e64 v[14:15], v[56:57], -v[14:15]
	s_delay_alu instid0(VALU_DEP_2) | instskip(SKIP_1) | instid1(VALU_DEP_2)
	v_fma_f64 v[16:17], v[18:19], v[144:145], -v[0:1]
	v_mul_f64_e32 v[0:1], v[18:19], v[146:147]
	v_add_f64_e64 v[200:201], v[42:43], -v[16:17]
	s_delay_alu instid0(VALU_DEP_2) | instskip(NEXT) | instid1(VALU_DEP_2)
	v_fma_f64 v[18:19], v[20:21], v[144:145], v[0:1]
	v_fma_f64 v[42:43], v[42:43], 2.0, -v[200:201]
	s_delay_alu instid0(VALU_DEP_2) | instskip(SKIP_1) | instid1(VALU_DEP_2)
	v_add_f64_e64 v[18:19], v[48:49], -v[18:19]
	v_mul_f64_e32 v[0:1], v[22:23], v[186:187]
	v_fma_f64 v[52:53], v[48:49], 2.0, -v[18:19]
	s_delay_alu instid0(VALU_DEP_2)
	v_fma_f64 v[20:21], v[24:25], v[184:185], v[0:1]
	v_mul_f64_e32 v[0:1], v[24:25], v[186:187]
	v_add_f64_e64 v[24:25], v[50:51], -v[142:143]
	v_add_f64_e64 v[142:143], v[32:33], -v[190:191]
	;; [unrolled: 1-line block ×5, first 2 shown]
	v_fma_f64 v[12:13], v[60:61], 2.0, -v[192:193]
	v_add_f64_e64 v[16:17], v[136:137], -v[20:21]
	v_fma_f64 v[22:23], v[22:23], v[184:185], -v[0:1]
	v_add_f64_e64 v[0:1], v[6:7], -v[138:139]
	v_fma_f64 v[32:33], v[32:33], 2.0, -v[142:143]
	v_fma_f64 v[10:11], v[58:59], 2.0, -v[190:191]
	v_add_f64_e64 v[58:59], v[140:141], -v[8:9]
	v_add_f64_e32 v[190:191], v[188:189], v[190:191]
	v_fma_f64 v[48:49], v[136:137], 2.0, -v[16:17]
	v_add_f64_e64 v[20:21], v[62:63], -v[22:23]
	v_fma_f64 v[138:139], v[6:7], 2.0, -v[0:1]
	v_fma_f64 v[6:7], v[50:51], 2.0, -v[24:25]
	v_fma_f64 v[50:51], v[28:29], 2.0, -v[194:195]
	v_fma_f64 v[22:23], v[54:55], 2.0, -v[198:199]
	v_fma_f64 v[28:29], v[56:57], 2.0, -v[14:15]
	v_add_f64_e64 v[60:61], v[32:33], -v[10:11]
	v_add_f64_e64 v[26:27], v[0:1], -v[26:27]
	v_add_f64_e32 v[24:25], v[2:3], v[24:25]
	v_add_f64_e32 v[198:199], v[196:197], v[198:199]
	v_add_f64_e64 v[204:205], v[52:53], -v[48:49]
	v_fma_f64 v[54:55], v[62:63], 2.0, -v[20:21]
	v_add_f64_e64 v[62:63], v[34:35], -v[12:13]
	v_add_f64_e64 v[56:57], v[138:139], -v[6:7]
	v_add_f64_e32 v[20:21], v[18:19], v[20:21]
	v_add_f64_e64 v[136:137], v[50:51], -v[22:23]
	v_add_f64_e64 v[202:203], v[30:31], -v[28:29]
	v_add_f64_e32 v[28:29], v[58:59], v[60:61]
	v_add_f64_e64 v[54:55], v[42:43], -v[54:55]
	v_add_f64_e64 v[22:23], v[56:57], -v[62:63]
	v_fma_f64 v[18:19], v[18:19], 2.0, -v[20:21]
	v_add_f64_e64 v[10:11], v[136:137], -v[204:205]
	v_fma_f64 v[30:31], v[30:31], 2.0, -v[202:203]
	v_fma_f64 v[208:209], v[58:59], 2.0, -v[28:29]
	v_add_f64_e32 v[12:13], v[202:203], v[54:55]
	v_fma_f64 v[206:207], v[56:57], 2.0, -v[22:23]
	s_wait_alu 0xfffe
	v_fma_f64 v[6:7], v[10:11], s[14:15], v[22:23]
	v_fma_f64 v[48:49], v[136:137], 2.0, -v[10:11]
	s_delay_alu instid0(VALU_DEP_4) | instskip(NEXT) | instid1(VALU_DEP_3)
	v_fma_f64 v[8:9], v[12:13], s[14:15], v[28:29]
	v_fma_f64 v[6:7], v[12:13], s[10:11], v[6:7]
	s_delay_alu instid0(VALU_DEP_2) | instskip(SKIP_2) | instid1(VALU_DEP_4)
	v_fma_f64 v[8:9], v[10:11], s[14:15], v[8:9]
	v_fma_f64 v[10:11], v[202:203], 2.0, -v[12:13]
	v_fma_f64 v[12:13], v[48:49], s[10:11], v[206:207]
	v_fma_f64 v[22:23], v[22:23], 2.0, -v[6:7]
	s_delay_alu instid0(VALU_DEP_3) | instskip(NEXT) | instid1(VALU_DEP_3)
	v_fma_f64 v[210:211], v[10:11], s[10:11], v[208:209]
	v_fma_f64 v[10:11], v[10:11], s[10:11], v[12:13]
	s_delay_alu instid0(VALU_DEP_2) | instskip(SKIP_4) | instid1(VALU_DEP_4)
	v_fma_f64 v[12:13], v[48:49], s[14:15], v[210:211]
	v_add_f64_e64 v[48:49], v[142:143], -v[192:193]
	v_add_f64_e64 v[192:193], v[194:195], -v[14:15]
	;; [unrolled: 1-line block ×3, first 2 shown]
	v_fma_f64 v[16:17], v[20:21], s[14:15], v[198:199]
	v_fma_f64 v[14:15], v[48:49], s[14:15], v[26:27]
	s_delay_alu instid0(VALU_DEP_2) | instskip(NEXT) | instid1(VALU_DEP_2)
	v_fma_f64 v[16:17], v[210:211], s[14:15], v[16:17]
	v_fma_f64 v[212:213], v[190:191], s[10:11], v[14:15]
	v_fma_f64 v[14:15], v[190:191], s[14:15], v[24:25]
	s_delay_alu instid0(VALU_DEP_1) | instskip(SKIP_1) | instid1(VALU_DEP_2)
	v_fma_f64 v[214:215], v[48:49], s[14:15], v[14:15]
	v_fma_f64 v[14:15], v[210:211], s[14:15], v[192:193]
	;; [unrolled: 1-line block ×3, first 2 shown]
	s_delay_alu instid0(VALU_DEP_2) | instskip(SKIP_3) | instid1(VALU_DEP_4)
	v_fma_f64 v[14:15], v[20:21], s[10:11], v[14:15]
	v_fma_f64 v[220:221], v[24:25], 2.0, -v[214:215]
	v_fma_f64 v[24:25], v[2:3], 2.0, -v[24:25]
	;; [unrolled: 1-line block ×3, first 2 shown]
	v_fma_f64 v[216:217], v[14:15], s[22:23], v[212:213]
	v_fma_f64 v[238:239], v[14:15], s[20:21], v[218:219]
	v_fma_f64 v[218:219], v[26:27], 2.0, -v[212:213]
	v_fma_f64 v[26:27], v[0:1], 2.0, -v[26:27]
	;; [unrolled: 1-line block ×4, first 2 shown]
	v_fma_f64 v[142:143], v[2:3], s[10:11], v[24:25]
	v_fma_f64 v[236:237], v[16:17], s[18:19], v[216:217]
	v_fma_f64 v[216:217], v[192:193], 2.0, -v[14:15]
	v_fma_f64 v[192:193], v[194:195], 2.0, -v[192:193]
	;; [unrolled: 1-line block ×4, first 2 shown]
	v_fma_f64 v[142:143], v[0:1], s[14:15], v[142:143]
	v_fma_f64 v[0:1], v[0:1], s[10:11], v[26:27]
	;; [unrolled: 1-line block ×5, first 2 shown]
	s_delay_alu instid0(VALU_DEP_4) | instskip(NEXT) | instid1(VALU_DEP_4)
	v_fma_f64 v[188:189], v[2:3], s[10:11], v[0:1]
	v_fma_f64 v[14:15], v[14:15], s[16:17], v[16:17]
	s_delay_alu instid0(VALU_DEP_4) | instskip(SKIP_2) | instid1(VALU_DEP_3)
	v_fma_f64 v[20:21], v[18:19], s[10:11], v[20:21]
	v_fma_f64 v[18:19], v[18:19], s[10:11], v[48:49]
	;; [unrolled: 1-line block ×3, first 2 shown]
	v_fma_f64 v[190:191], v[192:193], 2.0, -v[20:21]
	s_delay_alu instid0(VALU_DEP_3) | instskip(SKIP_2) | instid1(VALU_DEP_3)
	v_fma_f64 v[18:19], v[194:195], s[14:15], v[18:19]
	v_fma_f64 v[192:193], v[20:21], s[20:21], v[188:189]
	v_fma_f64 v[194:195], v[24:25], 2.0, -v[142:143]
	v_fma_f64 v[0:1], v[18:19], s[20:21], v[142:143]
	s_delay_alu instid0(VALU_DEP_1) | instskip(NEXT) | instid1(VALU_DEP_4)
	v_fma_f64 v[2:3], v[20:21], s[22:23], v[0:1]
	v_fma_f64 v[0:1], v[18:19], s[16:17], v[192:193]
	v_fma_f64 v[18:19], v[48:49], 2.0, -v[18:19]
	v_fma_f64 v[192:193], v[26:27], 2.0, -v[188:189]
	v_fma_f64 v[26:27], v[212:213], 2.0, -v[236:237]
	v_lshlrev_b32_e32 v48, 4, v4
	v_fma_f64 v[4:5], v[138:139], 2.0, -v[56:57]
	v_fma_f64 v[56:57], v[140:141], 2.0, -v[58:59]
	v_fma_f64 v[24:25], v[18:19], s[16:17], v[194:195]
	v_fma_f64 v[20:21], v[190:191], s[16:17], v[192:193]
	s_delay_alu instid0(VALU_DEP_1) | instskip(NEXT) | instid1(VALU_DEP_3)
	v_fma_f64 v[18:19], v[18:19], s[18:19], v[20:21]
	v_fma_f64 v[20:21], v[190:191], s[20:21], v[24:25]
	v_fma_f64 v[24:25], v[28:29], 2.0, -v[8:9]
	v_fma_f64 v[28:29], v[214:215], 2.0, -v[238:239]
	ds_store_b128 v48, v[22:25] offset:1728
	ds_store_b128 v48, v[26:29] offset:2016
	v_fma_f64 v[22:23], v[206:207], 2.0, -v[10:11]
	v_fma_f64 v[24:25], v[208:209], 2.0, -v[12:13]
	ds_store_b128 v48, v[10:13] offset:2880
	ds_store_b128 v48, v[14:17] offset:3168
	v_fma_f64 v[10:11], v[218:219], 2.0, -v[14:15]
	v_fma_f64 v[12:13], v[220:221], 2.0, -v[16:17]
	v_fma_f64 v[14:15], v[32:33], 2.0, -v[60:61]
	v_fma_f64 v[16:17], v[34:35], 2.0, -v[62:63]
	v_fma_f64 v[32:33], v[50:51], 2.0, -v[136:137]
	v_fma_f64 v[26:27], v[52:53], 2.0, -v[204:205]
	v_fma_f64 v[28:29], v[42:43], 2.0, -v[54:55]
	v_add_f64_e64 v[34:35], v[4:5], -v[14:15]
	v_add_f64_e64 v[42:43], v[56:57], -v[16:17]
	s_delay_alu instid0(VALU_DEP_4) | instskip(NEXT) | instid1(VALU_DEP_4)
	v_add_f64_e64 v[49:50], v[30:31], -v[26:27]
	v_add_f64_e64 v[51:52], v[32:33], -v[28:29]
	s_delay_alu instid0(VALU_DEP_4) | instskip(NEXT) | instid1(VALU_DEP_3)
	v_fma_f64 v[4:5], v[4:5], 2.0, -v[34:35]
	v_add_f64_e64 v[14:15], v[34:35], -v[49:50]
	s_delay_alu instid0(VALU_DEP_3) | instskip(NEXT) | instid1(VALU_DEP_2)
	v_add_f64_e32 v[16:17], v[42:43], v[51:52]
	v_fma_f64 v[26:27], v[34:35], 2.0, -v[14:15]
	s_delay_alu instid0(VALU_DEP_2)
	v_fma_f64 v[28:29], v[42:43], 2.0, -v[16:17]
	ds_store_b128 v48, v[14:17] offset:3456
	v_fma_f64 v[14:15], v[188:189], 2.0, -v[0:1]
	v_fma_f64 v[16:17], v[142:143], 2.0, -v[2:3]
	ds_store_b128 v48, v[0:3] offset:3744
	ds_store_b128 v48, v[22:25] offset:576
	;; [unrolled: 1-line block ×5, first 2 shown]
	v_fma_f64 v[12:13], v[56:57], 2.0, -v[42:43]
	v_fma_f64 v[0:1], v[32:33], 2.0, -v[51:52]
	;; [unrolled: 1-line block ×3, first 2 shown]
	s_delay_alu instid0(VALU_DEP_2) | instskip(NEXT) | instid1(VALU_DEP_2)
	v_add_f64_e64 v[0:1], v[4:5], -v[0:1]
	v_add_f64_e64 v[2:3], v[12:13], -v[2:3]
	s_delay_alu instid0(VALU_DEP_2) | instskip(NEXT) | instid1(VALU_DEP_2)
	v_fma_f64 v[10:11], v[4:5], 2.0, -v[0:1]
	v_fma_f64 v[12:13], v[12:13], 2.0, -v[2:3]
	ds_store_b128 v48, v[0:3] offset:2304
	v_fma_f64 v[0:1], v[192:193], 2.0, -v[18:19]
	v_fma_f64 v[2:3], v[194:195], 2.0, -v[20:21]
	ds_store_b128 v48, v[18:21] offset:2592
	ds_store_b128 v48, v[10:13]
	ds_store_b128 v48, v[0:3] offset:288
	ds_store_b128 v48, v[6:9] offset:4032
	;; [unrolled: 1-line block ×3, first 2 shown]
	global_wb scope:SCOPE_SE
	s_wait_dscnt 0x0
	s_barrier_signal -1
	s_barrier_wait -1
	global_inv scope:SCOPE_SE
	ds_load_b128 v[0:3], v44
	ds_load_b128 v[252:255], v44 offset:864
	ds_load_b128 v[196:199], v44 offset:9216
	;; [unrolled: 1-line block ×14, first 2 shown]
	s_and_saveexec_b32 s1, vcc_lo
	s_cbranch_execz .LBB0_13
; %bb.12:
	ds_load_b128 v[236:239], v44 offset:4320
	ds_load_b128 v[228:231], v44 offset:8928
	;; [unrolled: 1-line block ×3, first 2 shown]
.LBB0_13:
	s_wait_alu 0xfffe
	s_or_b32 exec_lo, exec_lo, s1
	scratch_load_b32 v65, off, off          ; 4-byte Folded Reload
	v_lshlrev_b32_e32 v40, 5, v40
	s_mov_b32 s11, 0xbfebb67a
	s_wait_loadcnt 0x0
	v_lshlrev_b32_e32 v28, 5, v65
	s_clause 0x1
	global_load_b128 v[188:191], v28, s[2:3] offset:4560
	global_load_b128 v[192:195], v28, s[2:3] offset:4576
	s_wait_loadcnt_dscnt 0x104
	v_mul_f64_e32 v[28:29], v[202:203], v[190:191]
	v_mul_f64_e32 v[30:31], v[200:201], v[190:191]
	s_wait_loadcnt 0x0
	v_mul_f64_e32 v[32:33], v[198:199], v[194:195]
	v_mul_f64_e32 v[34:35], v[196:197], v[194:195]
	s_delay_alu instid0(VALU_DEP_4) | instskip(NEXT) | instid1(VALU_DEP_4)
	v_fma_f64 v[28:29], v[200:201], v[188:189], -v[28:29]
	v_fma_f64 v[30:31], v[202:203], v[188:189], v[30:31]
	s_delay_alu instid0(VALU_DEP_4) | instskip(NEXT) | instid1(VALU_DEP_4)
	v_fma_f64 v[32:33], v[196:197], v[192:193], -v[32:33]
	v_fma_f64 v[34:35], v[198:199], v[192:193], v[34:35]
	s_clause 0x1
	global_load_b128 v[196:199], v40, s[2:3] offset:4560
	global_load_b128 v[200:203], v40, s[2:3] offset:4576
	v_lshlrev_b32_e32 v40, 5, v41
	s_clause 0x1
	global_load_b128 v[204:207], v40, s[2:3] offset:4560
	global_load_b128 v[208:211], v40, s[2:3] offset:4576
	s_wait_loadcnt 0x3
	v_mul_f64_e32 v[42:43], v[142:143], v[198:199]
	s_wait_loadcnt 0x2
	v_mul_f64_e32 v[51:52], v[138:139], v[202:203]
	v_mul_f64_e32 v[53:54], v[136:137], v[202:203]
	;; [unrolled: 1-line block ×3, first 2 shown]
	s_wait_loadcnt 0x1
	v_mul_f64_e32 v[40:41], v[22:23], v[206:207]
	v_fma_f64 v[42:43], v[140:141], v[196:197], -v[42:43]
	v_fma_f64 v[51:52], v[136:137], v[200:201], -v[51:52]
	v_fma_f64 v[53:54], v[138:139], v[200:201], v[53:54]
	v_fma_f64 v[49:50], v[142:143], v[196:197], v[49:50]
	v_fma_f64 v[40:41], v[20:21], v[204:205], -v[40:41]
	v_mul_f64_e32 v[20:21], v[20:21], v[206:207]
	s_delay_alu instid0(VALU_DEP_1) | instskip(SKIP_2) | instid1(VALU_DEP_1)
	v_fma_f64 v[55:56], v[22:23], v[204:205], v[20:21]
	s_wait_loadcnt 0x0
	v_mul_f64_e32 v[20:21], v[26:27], v[210:211]
	v_fma_f64 v[57:58], v[24:25], v[208:209], -v[20:21]
	v_mul_f64_e32 v[20:21], v[24:25], v[210:211]
	s_delay_alu instid0(VALU_DEP_1)
	v_fma_f64 v[24:25], v[26:27], v[208:209], v[20:21]
	v_lshlrev_b32_e32 v20, 5, v39
	s_clause 0x1
	global_load_b128 v[212:215], v20, s[2:3] offset:4560
	global_load_b128 v[216:219], v20, s[2:3] offset:4576
	v_add_f64_e64 v[26:27], v[42:43], -v[51:52]
	s_wait_loadcnt_dscnt 0x102
	v_mul_f64_e32 v[20:21], v[18:19], v[214:215]
	s_delay_alu instid0(VALU_DEP_1) | instskip(SKIP_2) | instid1(VALU_DEP_2)
	v_fma_f64 v[59:60], v[16:17], v[212:213], -v[20:21]
	v_mul_f64_e32 v[16:17], v[16:17], v[214:215]
	v_add_f64_e64 v[20:21], v[49:50], -v[53:54]
	v_fma_f64 v[61:62], v[18:19], v[212:213], v[16:17]
	s_wait_loadcnt 0x0
	v_mul_f64_e32 v[16:17], v[14:15], v[218:219]
	s_delay_alu instid0(VALU_DEP_1) | instskip(SKIP_2) | instid1(VALU_DEP_2)
	v_fma_f64 v[136:137], v[12:13], v[216:217], -v[16:17]
	v_mul_f64_e32 v[12:13], v[12:13], v[218:219]
	v_add_f64_e32 v[16:17], v[252:253], v[42:43]
	v_fma_f64 v[138:139], v[14:15], v[216:217], v[12:13]
	v_lshlrev_b32_e32 v12, 5, v38
	s_clause 0x1
	global_load_b128 v[220:223], v12, s[2:3] offset:4560
	global_load_b128 v[224:227], v12, s[2:3] offset:4576
	s_wait_loadcnt_dscnt 0x101
	v_mul_f64_e32 v[12:13], v[10:11], v[222:223]
	s_delay_alu instid0(VALU_DEP_1) | instskip(SKIP_1) | instid1(VALU_DEP_1)
	v_fma_f64 v[140:141], v[8:9], v[220:221], -v[12:13]
	v_mul_f64_e32 v[8:9], v[8:9], v[222:223]
	v_fma_f64 v[142:143], v[10:11], v[220:221], v[8:9]
	s_wait_loadcnt_dscnt 0x0
	v_mul_f64_e32 v[8:9], v[6:7], v[226:227]
	s_delay_alu instid0(VALU_DEP_1) | instskip(SKIP_1) | instid1(VALU_DEP_1)
	v_fma_f64 v[45:46], v[4:5], v[224:225], -v[8:9]
	v_mul_f64_e32 v[4:5], v[4:5], v[226:227]
	v_fma_f64 v[63:64], v[6:7], v[224:225], v[4:5]
	v_add_co_u32 v4, s1, 0xffffffee, v65
	s_wait_alu 0xf1ff
	v_add_co_ci_u32_e64 v5, null, 0, -1, s1
	s_delay_alu instid0(VALU_DEP_1) | instskip(SKIP_1) | instid1(VALU_DEP_2)
	v_dual_cndmask_b32 v4, v4, v36 :: v_dual_cndmask_b32 v5, v5, v37
	v_add_f64_e64 v[36:37], v[40:41], -v[57:58]
	v_lshlrev_b64_e32 v[4:5], 5, v[4:5]
	s_delay_alu instid0(VALU_DEP_1) | instskip(SKIP_1) | instid1(VALU_DEP_2)
	v_add_co_u32 v4, s1, s2, v4
	s_wait_alu 0xf1ff
	v_add_co_ci_u32_e64 v5, s1, s3, v5, s1
	s_clause 0x1
	global_load_b128 v[6:9], v[4:5], off offset:4560
	global_load_b128 v[10:13], v[4:5], off offset:4576
	s_mov_b32 s2, 0xe8584caa
	s_mov_b32 s3, 0x3febb67a
	s_wait_alu 0xfffe
	s_mov_b32 s10, s2
	s_wait_loadcnt 0x1
	v_mul_f64_e32 v[4:5], v[230:231], v[8:9]
	scratch_store_b128 off, v[6:9], off offset:364 ; 16-byte Folded Spill
	s_wait_loadcnt 0x0
	scratch_store_b128 off, v[10:13], off offset:380 ; 16-byte Folded Spill
	v_fma_f64 v[65:66], v[228:229], v[6:7], -v[4:5]
	v_mul_f64_e32 v[4:5], v[228:229], v[8:9]
	v_add_f64_e64 v[8:9], v[30:31], -v[34:35]
	s_delay_alu instid0(VALU_DEP_2) | instskip(SKIP_1) | instid1(VALU_DEP_1)
	v_fma_f64 v[228:229], v[230:231], v[6:7], v[4:5]
	v_mul_f64_e32 v[4:5], v[234:235], v[12:13]
	v_fma_f64 v[67:68], v[232:233], v[10:11], -v[4:5]
	v_mul_f64_e32 v[4:5], v[232:233], v[12:13]
	v_add_f64_e64 v[12:13], v[28:29], -v[32:33]
	s_delay_alu instid0(VALU_DEP_2) | instskip(SKIP_1) | instid1(VALU_DEP_1)
	v_fma_f64 v[69:70], v[234:235], v[10:11], v[4:5]
	v_add_f64_e32 v[4:5], v[28:29], v[32:33]
	v_fma_f64 v[6:7], v[4:5], -0.5, v[0:1]
	v_add_f64_e32 v[4:5], v[30:31], v[34:35]
	v_add_f64_e32 v[0:1], v[0:1], v[28:29]
	;; [unrolled: 1-line block ×3, first 2 shown]
	s_delay_alu instid0(VALU_DEP_3)
	v_fma_f64 v[10:11], v[4:5], -0.5, v[2:3]
	v_fma_f64 v[4:5], v[8:9], s[2:3], v[6:7]
	s_wait_alu 0xfffe
	v_fma_f64 v[8:9], v[8:9], s[10:11], v[6:7]
	v_add_f64_e32 v[2:3], v[2:3], v[30:31]
	v_add_f64_e32 v[0:1], v[0:1], v[32:33]
	v_add_f64_e64 v[32:33], v[55:56], -v[24:25]
	v_fma_f64 v[6:7], v[12:13], s[10:11], v[10:11]
	v_fma_f64 v[10:11], v[12:13], s[2:3], v[10:11]
	v_add_f64_e32 v[12:13], v[42:43], v[51:52]
	v_add_f64_e32 v[2:3], v[2:3], v[34:35]
	s_delay_alu instid0(VALU_DEP_2) | instskip(SKIP_1) | instid1(VALU_DEP_1)
	v_fma_f64 v[18:19], v[12:13], -0.5, v[252:253]
	v_add_f64_e32 v[12:13], v[49:50], v[53:54]
	v_fma_f64 v[22:23], v[12:13], -0.5, v[254:255]
	v_add_f64_e32 v[12:13], v[254:255], v[49:50]
	s_delay_alu instid0(VALU_DEP_1)
	v_add_f64_e32 v[14:15], v[12:13], v[53:54]
	v_add_f64_e32 v[12:13], v[16:17], v[51:52]
	v_fma_f64 v[16:17], v[20:21], s[2:3], v[18:19]
	v_fma_f64 v[20:21], v[20:21], s[10:11], v[18:19]
	;; [unrolled: 1-line block ×4, first 2 shown]
	v_add_f64_e32 v[26:27], v[40:41], v[57:58]
	v_add_f64_e32 v[40:41], v[244:245], v[59:60]
	v_add_f64_e64 v[51:52], v[61:62], -v[138:139]
	v_add_f64_e64 v[53:54], v[59:60], -v[136:137]
	s_delay_alu instid0(VALU_DEP_4) | instskip(SKIP_1) | instid1(VALU_DEP_1)
	v_fma_f64 v[30:31], v[26:27], -0.5, v[248:249]
	v_add_f64_e32 v[26:27], v[55:56], v[24:25]
	v_fma_f64 v[34:35], v[26:27], -0.5, v[250:251]
	v_add_f64_e32 v[26:27], v[250:251], v[55:56]
	v_add_f64_e32 v[55:56], v[240:241], v[140:141]
	s_delay_alu instid0(VALU_DEP_2)
	v_add_f64_e32 v[26:27], v[26:27], v[24:25]
	v_add_f64_e32 v[24:25], v[28:29], v[57:58]
	v_fma_f64 v[28:29], v[32:33], s[2:3], v[30:31]
	v_fma_f64 v[32:33], v[32:33], s[10:11], v[30:31]
	;; [unrolled: 1-line block ×4, first 2 shown]
	v_add_f64_e32 v[36:37], v[59:60], v[136:137]
	v_add_f64_e64 v[57:58], v[142:143], -v[63:64]
	s_delay_alu instid0(VALU_DEP_2) | instskip(SKIP_1) | instid1(VALU_DEP_2)
	v_fma_f64 v[42:43], v[36:37], -0.5, v[244:245]
	v_add_f64_e32 v[36:37], v[61:62], v[138:139]
	v_fma_f64 v[244:245], v[51:52], s[10:11], v[42:43]
	s_delay_alu instid0(VALU_DEP_2) | instskip(SKIP_1) | instid1(VALU_DEP_2)
	v_fma_f64 v[49:50], v[36:37], -0.5, v[246:247]
	v_add_f64_e32 v[36:37], v[246:247], v[61:62]
	v_fma_f64 v[246:247], v[53:54], s[2:3], v[49:50]
	s_delay_alu instid0(VALU_DEP_2)
	v_add_f64_e32 v[38:39], v[36:37], v[138:139]
	v_add_f64_e32 v[36:37], v[40:41], v[136:137]
	v_fma_f64 v[40:41], v[51:52], s[2:3], v[42:43]
	v_fma_f64 v[42:43], v[53:54], s[10:11], v[49:50]
	v_add_f64_e32 v[49:50], v[140:141], v[45:46]
	v_add_f64_e32 v[51:52], v[142:143], v[63:64]
	;; [unrolled: 1-line block ×3, first 2 shown]
	s_delay_alu instid0(VALU_DEP_3) | instskip(NEXT) | instid1(VALU_DEP_3)
	v_fma_f64 v[49:50], v[49:50], -0.5, v[240:241]
	v_fma_f64 v[51:52], v[51:52], -0.5, v[242:243]
	v_add_f64_e32 v[240:241], v[55:56], v[45:46]
	v_add_f64_e64 v[45:46], v[140:141], -v[45:46]
	v_add_f64_e32 v[242:243], v[53:54], v[63:64]
	v_add_f64_e32 v[53:54], v[236:237], v[65:66]
	v_add_f64_e64 v[55:56], v[228:229], -v[69:70]
	v_fma_f64 v[248:249], v[57:58], s[2:3], v[49:50]
	v_fma_f64 v[252:253], v[57:58], s[10:11], v[49:50]
	v_add_f64_e32 v[49:50], v[228:229], v[69:70]
	v_fma_f64 v[250:251], v[45:46], s[10:11], v[51:52]
	v_fma_f64 v[254:255], v[45:46], s[2:3], v[51:52]
	v_add_f64_e32 v[45:46], v[65:66], v[67:68]
	v_add_f64_e32 v[51:52], v[238:239], v[228:229]
	;; [unrolled: 1-line block ×3, first 2 shown]
	ds_store_b128 v44, v[0:3]
	ds_store_b128 v44, v[12:15] offset:864
	ds_store_b128 v44, v[8:11] offset:9216
	;; [unrolled: 1-line block ×14, first 2 shown]
	v_fma_f64 v[49:50], v[49:50], -0.5, v[238:239]
	v_fma_f64 v[45:46], v[45:46], -0.5, v[236:237]
	v_add_f64_e32 v[230:231], v[51:52], v[69:70]
	v_add_f64_e64 v[51:52], v[65:66], -v[67:68]
	s_delay_alu instid0(VALU_DEP_3) | instskip(SKIP_1) | instid1(VALU_DEP_3)
	v_fma_f64 v[232:233], v[55:56], s[2:3], v[45:46]
	v_fma_f64 v[236:237], v[55:56], s[10:11], v[45:46]
	;; [unrolled: 1-line block ×4, first 2 shown]
	s_and_saveexec_b32 s1, vcc_lo
	s_cbranch_execz .LBB0_15
; %bb.14:
	ds_store_b128 v44, v[228:231] offset:4320
	ds_store_b128 v44, v[232:235] offset:8928
	;; [unrolled: 1-line block ×3, first 2 shown]
.LBB0_15:
	s_wait_alu 0xfffe
	s_or_b32 exec_lo, exec_lo, s1
	global_wb scope:SCOPE_SE
	s_wait_storecnt_dscnt 0x0
	s_barrier_signal -1
	s_barrier_wait -1
	global_inv scope:SCOPE_SE
	scratch_load_b64 v[0:1], off, off offset:4 ; 8-byte Folded Reload
	s_add_nc_u64 s[2:3], s[12:13], 0x3600
	s_wait_loadcnt 0x0
	global_load_b128 v[1:4], v[0:1], off offset:13824
	scratch_load_b32 v0, off, off           ; 4-byte Folded Reload
	s_wait_loadcnt 0x0
	v_lshlrev_b32_e32 v0, 4, v0
	s_clause 0x1
	global_load_b128 v[5:8], v0, s[2:3] offset:4608
	global_load_b128 v[9:12], v0, s[2:3] offset:9216
	ds_load_b128 v[13:16], v44
	ds_load_b128 v[17:20], v44 offset:864
	ds_load_b128 v[21:24], v44 offset:4608
	;; [unrolled: 1-line block ×3, first 2 shown]
	global_load_b128 v[29:32], v0, s[2:3] offset:5472
	s_wait_dscnt 0x3
	v_mul_f64_e32 v[33:34], v[15:16], v[3:4]
	v_mul_f64_e32 v[3:4], v[13:14], v[3:4]
	s_delay_alu instid0(VALU_DEP_2) | instskip(NEXT) | instid1(VALU_DEP_2)
	v_fma_f64 v[13:14], v[13:14], v[1:2], -v[33:34]
	v_fma_f64 v[15:16], v[15:16], v[1:2], v[3:4]
	ds_load_b128 v[1:4], v44 offset:9216
	s_wait_loadcnt_dscnt 0x202
	v_mul_f64_e32 v[33:34], v[23:24], v[7:8]
	v_mul_f64_e32 v[7:8], v[21:22], v[7:8]
	s_delay_alu instid0(VALU_DEP_2) | instskip(NEXT) | instid1(VALU_DEP_2)
	v_fma_f64 v[21:22], v[21:22], v[5:6], -v[33:34]
	v_fma_f64 v[23:24], v[23:24], v[5:6], v[7:8]
	ds_load_b128 v[5:8], v44 offset:10080
	s_wait_loadcnt_dscnt 0x101
	v_mul_f64_e32 v[37:38], v[3:4], v[11:12]
	v_mul_f64_e32 v[11:12], v[1:2], v[11:12]
	global_load_b128 v[33:36], v0, s[2:3] offset:8064
	v_fma_f64 v[1:2], v[1:2], v[9:10], -v[37:38]
	v_fma_f64 v[3:4], v[3:4], v[9:10], v[11:12]
	s_clause 0x1
	global_load_b128 v[9:12], v0, s[2:3] offset:864
	global_load_b128 v[37:40], v0, s[2:3] offset:1728
	s_wait_loadcnt 0x1
	v_mul_f64_e32 v[41:42], v[19:20], v[11:12]
	v_mul_f64_e32 v[11:12], v[17:18], v[11:12]
	s_delay_alu instid0(VALU_DEP_2) | instskip(NEXT) | instid1(VALU_DEP_2)
	v_fma_f64 v[17:18], v[17:18], v[9:10], -v[41:42]
	v_fma_f64 v[19:20], v[19:20], v[9:10], v[11:12]
	ds_load_b128 v[9:12], v44 offset:5472
	ds_load_b128 v[240:243], v44 offset:6336
	s_wait_dscnt 0x1
	v_mul_f64_e32 v[41:42], v[11:12], v[31:32]
	v_mul_f64_e32 v[31:32], v[9:10], v[31:32]
	s_delay_alu instid0(VALU_DEP_2) | instskip(NEXT) | instid1(VALU_DEP_2)
	v_fma_f64 v[9:10], v[9:10], v[29:30], -v[41:42]
	v_fma_f64 v[11:12], v[11:12], v[29:30], v[31:32]
	s_clause 0x1
	global_load_b128 v[29:32], v0, s[2:3] offset:10080
	global_load_b128 v[244:247], v0, s[2:3] offset:10944
	s_wait_loadcnt 0x1
	v_mul_f64_e32 v[41:42], v[7:8], v[31:32]
	v_mul_f64_e32 v[31:32], v[5:6], v[31:32]
	s_delay_alu instid0(VALU_DEP_2) | instskip(NEXT) | instid1(VALU_DEP_2)
	v_fma_f64 v[5:6], v[5:6], v[29:30], -v[41:42]
	v_fma_f64 v[7:8], v[7:8], v[29:30], v[31:32]
	ds_load_b128 v[29:32], v44 offset:1728
	ds_load_b128 v[248:251], v44 offset:2592
	s_wait_dscnt 0x1
	v_mul_f64_e32 v[41:42], v[31:32], v[39:40]
	v_mul_f64_e32 v[39:40], v[29:30], v[39:40]
	s_delay_alu instid0(VALU_DEP_2) | instskip(NEXT) | instid1(VALU_DEP_2)
	v_fma_f64 v[29:30], v[29:30], v[37:38], -v[41:42]
	v_fma_f64 v[31:32], v[31:32], v[37:38], v[39:40]
	s_clause 0x1
	global_load_b128 v[37:40], v0, s[2:3] offset:6336
	global_load_b128 v[252:255], v0, s[2:3] offset:7200
	s_wait_loadcnt 0x1
	v_mul_f64_e32 v[41:42], v[242:243], v[39:40]
	v_mul_f64_e32 v[45:46], v[240:241], v[39:40]
	s_delay_alu instid0(VALU_DEP_2) | instskip(NEXT) | instid1(VALU_DEP_2)
	v_fma_f64 v[39:40], v[240:241], v[37:38], -v[41:42]
	v_fma_f64 v[41:42], v[242:243], v[37:38], v[45:46]
	ds_load_b128 v[240:243], v44 offset:10944
	ds_load_b128 v[49:52], v44 offset:11808
	s_wait_dscnt 0x1
	v_mul_f64_e32 v[37:38], v[242:243], v[246:247]
	v_mul_f64_e32 v[45:46], v[240:241], v[246:247]
	s_delay_alu instid0(VALU_DEP_2) | instskip(NEXT) | instid1(VALU_DEP_2)
	v_fma_f64 v[240:241], v[240:241], v[244:245], -v[37:38]
	v_fma_f64 v[242:243], v[242:243], v[244:245], v[45:46]
	s_clause 0x1
	global_load_b128 v[244:247], v0, s[2:3] offset:2592
	global_load_b128 v[53:56], v0, s[2:3] offset:3456
	ds_load_b128 v[136:139], v44 offset:7200
	ds_load_b128 v[140:143], v44 offset:8064
	s_wait_loadcnt 0x1
	v_mul_f64_e32 v[37:38], v[250:251], v[246:247]
	v_mul_f64_e32 v[45:46], v[248:249], v[246:247]
	s_delay_alu instid0(VALU_DEP_2) | instskip(NEXT) | instid1(VALU_DEP_2)
	v_fma_f64 v[246:247], v[248:249], v[244:245], -v[37:38]
	v_fma_f64 v[248:249], v[250:251], v[244:245], v[45:46]
	s_wait_dscnt 0x1
	v_mul_f64_e32 v[37:38], v[138:139], v[254:255]
	v_mul_f64_e32 v[45:46], v[136:137], v[254:255]
	s_delay_alu instid0(VALU_DEP_2) | instskip(NEXT) | instid1(VALU_DEP_2)
	v_fma_f64 v[136:137], v[136:137], v[252:253], -v[37:38]
	v_fma_f64 v[138:139], v[138:139], v[252:253], v[45:46]
	s_clause 0x1
	global_load_b128 v[250:253], v0, s[2:3] offset:11808
	global_load_b128 v[57:60], v0, s[2:3] offset:12672
	s_wait_loadcnt 0x1
	v_mul_f64_e32 v[37:38], v[51:52], v[252:253]
	v_mul_f64_e32 v[45:46], v[49:50], v[252:253]
	s_delay_alu instid0(VALU_DEP_2) | instskip(NEXT) | instid1(VALU_DEP_2)
	v_fma_f64 v[49:50], v[49:50], v[250:251], -v[37:38]
	v_fma_f64 v[51:52], v[51:52], v[250:251], v[45:46]
	v_mul_f64_e32 v[37:38], v[27:28], v[55:56]
	v_mul_f64_e32 v[45:46], v[25:26], v[55:56]
	s_delay_alu instid0(VALU_DEP_2) | instskip(NEXT) | instid1(VALU_DEP_2)
	v_fma_f64 v[25:26], v[25:26], v[53:54], -v[37:38]
	v_fma_f64 v[27:28], v[27:28], v[53:54], v[45:46]
	s_wait_dscnt 0x0
	v_mul_f64_e32 v[37:38], v[142:143], v[35:36]
	v_mul_f64_e32 v[45:46], v[140:141], v[35:36]
	ds_load_b128 v[53:56], v44 offset:12672
	v_fma_f64 v[35:36], v[140:141], v[33:34], -v[37:38]
	v_fma_f64 v[37:38], v[142:143], v[33:34], v[45:46]
	s_wait_loadcnt_dscnt 0x0
	v_mul_f64_e32 v[33:34], v[55:56], v[59:60]
	v_mul_f64_e32 v[45:46], v[53:54], v[59:60]
	s_delay_alu instid0(VALU_DEP_2) | instskip(NEXT) | instid1(VALU_DEP_2)
	v_fma_f64 v[53:54], v[53:54], v[57:58], -v[33:34]
	v_fma_f64 v[55:56], v[55:56], v[57:58], v[45:46]
	ds_store_b128 v44, v[13:16]
	ds_store_b128 v44, v[17:20] offset:864
	ds_store_b128 v44, v[1:4] offset:9216
	;; [unrolled: 1-line block ×14, first 2 shown]
	s_and_saveexec_b32 s1, vcc_lo
	s_cbranch_execz .LBB0_17
; %bb.16:
	s_wait_alu 0xfffe
	v_add_co_u32 v8, s2, s2, v0
	s_wait_alu 0xf1ff
	v_add_co_ci_u32_e64 v9, null, s3, 0, s2
	s_clause 0x2
	global_load_b128 v[0:3], v[8:9], off offset:4320
	global_load_b128 v[4:7], v[8:9], off offset:8928
	;; [unrolled: 1-line block ×3, first 2 shown]
	ds_load_b128 v[12:15], v44 offset:4320
	ds_load_b128 v[16:19], v44 offset:8928
	;; [unrolled: 1-line block ×3, first 2 shown]
	s_wait_loadcnt_dscnt 0x202
	v_mul_f64_e32 v[24:25], v[14:15], v[2:3]
	v_mul_f64_e32 v[2:3], v[12:13], v[2:3]
	s_wait_loadcnt_dscnt 0x101
	v_mul_f64_e32 v[26:27], v[18:19], v[6:7]
	v_mul_f64_e32 v[6:7], v[16:17], v[6:7]
	;; [unrolled: 3-line block ×3, first 2 shown]
	v_fma_f64 v[10:11], v[12:13], v[0:1], -v[24:25]
	v_fma_f64 v[12:13], v[14:15], v[0:1], v[2:3]
	v_fma_f64 v[0:1], v[16:17], v[4:5], -v[26:27]
	v_fma_f64 v[2:3], v[18:19], v[4:5], v[6:7]
	;; [unrolled: 2-line block ×3, first 2 shown]
	ds_store_b128 v44, v[10:13] offset:4320
	ds_store_b128 v44, v[0:3] offset:8928
	;; [unrolled: 1-line block ×3, first 2 shown]
.LBB0_17:
	s_wait_alu 0xfffe
	s_or_b32 exec_lo, exec_lo, s1
	global_wb scope:SCOPE_SE
	s_wait_dscnt 0x0
	s_barrier_signal -1
	s_barrier_wait -1
	global_inv scope:SCOPE_SE
	ds_load_b128 v[16:19], v44
	ds_load_b128 v[12:15], v44 offset:864
	ds_load_b128 v[36:39], v44 offset:9216
	;; [unrolled: 1-line block ×14, first 2 shown]
	s_and_saveexec_b32 s1, vcc_lo
	s_cbranch_execz .LBB0_19
; %bb.18:
	ds_load_b128 v[228:231], v44 offset:4320
	ds_load_b128 v[232:235], v44 offset:8928
	;; [unrolled: 1-line block ×3, first 2 shown]
.LBB0_19:
	s_wait_alu 0xfffe
	s_or_b32 exec_lo, exec_lo, s1
	s_wait_dscnt 0x4
	v_add_f64_e32 v[45:46], v[16:17], v[40:41]
	v_add_f64_e32 v[51:52], v[40:41], v[36:37]
	v_add_f64_e64 v[57:58], v[40:41], -v[36:37]
	v_add_f64_e32 v[40:41], v[12:13], v[32:33]
	v_add_f64_e64 v[61:62], v[32:33], -v[28:29]
	s_wait_dscnt 0x2
	v_add_f64_e32 v[136:137], v[248:249], v[240:241]
	v_add_f64_e64 v[142:143], v[248:249], -v[240:241]
	v_add_f64_e32 v[63:64], v[244:245], v[252:253]
	v_add_f64_e64 v[69:70], v[244:245], -v[252:253]
	global_wb scope:SCOPE_SE
	s_wait_dscnt 0x0
	s_barrier_signal -1
	s_barrier_wait -1
	global_inv scope:SCOPE_SE
	v_add_f64_e32 v[49:50], v[18:19], v[42:43]
	v_add_f64_e32 v[53:54], v[42:43], v[38:39]
	v_add_f64_e64 v[55:56], v[42:43], -v[38:39]
	v_add_f64_e32 v[42:43], v[14:15], v[34:35]
	v_add_f64_e64 v[59:60], v[34:35], -v[30:31]
	;; [unrolled: 2-line block ×4, first 2 shown]
	s_mov_b32 s2, 0xe8584caa
	s_mov_b32 s3, 0xbfebb67a
	;; [unrolled: 1-line block ×3, first 2 shown]
	s_wait_alu 0xfffe
	s_mov_b32 s10, s2
	v_add_f64_e64 v[73:74], v[232:233], -v[236:237]
	v_add_f64_e64 v[71:72], v[234:235], -v[238:239]
	v_add_f64_e32 v[36:37], v[45:46], v[36:37]
	v_add_f64_e32 v[45:46], v[32:33], v[28:29]
	;; [unrolled: 1-line block ×6, first 2 shown]
	v_fma_f64 v[0:1], v[136:137], -0.5, v[0:1]
	v_fma_f64 v[8:9], v[63:64], -0.5, v[8:9]
	v_add_f64_e32 v[38:39], v[49:50], v[38:39]
	v_add_f64_e32 v[49:50], v[34:35], v[30:31]
	;; [unrolled: 1-line block ×6, first 2 shown]
	v_fma_f64 v[2:3], v[138:139], -0.5, v[2:3]
	v_fma_f64 v[10:11], v[65:66], -0.5, v[10:11]
	v_add_f64_e32 v[32:33], v[32:33], v[252:253]
	v_add_f64_e32 v[252:253], v[232:233], v[236:237]
	;; [unrolled: 1-line block ×4, first 2 shown]
	v_add_f64_e64 v[24:25], v[24:25], -v[20:21]
	v_add_f64_e32 v[34:35], v[34:35], v[254:255]
	v_add_f64_e32 v[254:255], v[234:235], v[238:239]
	;; [unrolled: 1-line block ×4, first 2 shown]
	v_add_f64_e64 v[26:27], v[26:27], -v[22:23]
	v_add_f64_e32 v[240:241], v[240:241], v[20:21]
	v_add_f64_e32 v[20:21], v[228:229], v[232:233]
	s_delay_alu instid0(VALU_DEP_4) | instskip(SKIP_1) | instid1(VALU_DEP_3)
	v_add_f64_e32 v[242:243], v[242:243], v[22:23]
	v_add_f64_e32 v[22:23], v[230:231], v[234:235]
	;; [unrolled: 1-line block ×3, first 2 shown]
	v_fma_f64 v[20:21], v[51:52], -0.5, v[16:17]
	scratch_load_b32 v51, off, off offset:284 th:TH_LOAD_LU ; 4-byte Folded Reload
	v_add_f64_e32 v[246:247], v[22:23], v[238:239]
	v_fma_f64 v[22:23], v[53:54], -0.5, v[18:19]
	v_fma_f64 v[16:17], v[55:56], s[2:3], v[20:21]
	s_wait_alu 0xfffe
	v_fma_f64 v[20:21], v[55:56], s[10:11], v[20:21]
	s_delay_alu instid0(VALU_DEP_3)
	v_fma_f64 v[18:19], v[57:58], s[10:11], v[22:23]
	v_fma_f64 v[22:23], v[57:58], s[2:3], v[22:23]
	s_wait_loadcnt 0x0
	ds_store_b128 v51, v[36:39]
	ds_store_b128 v51, v[16:19] offset:16
	ds_store_b128 v51, v[20:23] offset:32
	scratch_load_b32 v20, off, off offset:280 th:TH_LOAD_LU ; 4-byte Folded Reload
	v_fma_f64 v[16:17], v[45:46], -0.5, v[12:13]
	v_fma_f64 v[18:19], v[49:50], -0.5, v[14:15]
	;; [unrolled: 1-line block ×3, first 2 shown]
	v_fma_f64 v[6:7], v[69:70], s[10:11], v[10:11]
	v_fma_f64 v[10:11], v[69:70], s[2:3], v[10:11]
	;; [unrolled: 1-line block ×7, first 2 shown]
	s_wait_loadcnt 0x0
	ds_store_b128 v20, v[28:31]
	ds_store_b128 v20, v[12:15] offset:16
	ds_store_b128 v20, v[16:19] offset:32
	v_fma_f64 v[20:21], v[248:249], -0.5, v[4:5]
	v_fma_f64 v[12:13], v[140:141], s[2:3], v[0:1]
	v_fma_f64 v[16:17], v[140:141], s[10:11], v[0:1]
	v_fma_f64 v[4:5], v[67:68], s[2:3], v[8:9]
	v_fma_f64 v[8:9], v[67:68], s[10:11], v[8:9]
	v_fma_f64 v[14:15], v[142:143], s[10:11], v[2:3]
	v_fma_f64 v[18:19], v[142:143], s[2:3], v[2:3]
	v_fma_f64 v[28:29], v[252:253], -0.5, v[228:229]
	v_fma_f64 v[30:31], v[254:255], -0.5, v[230:231]
	v_fma_f64 v[2:3], v[24:25], s[10:11], v[22:23]
	v_fma_f64 v[0:1], v[26:27], s[2:3], v[20:21]
	;; [unrolled: 1-line block ×3, first 2 shown]
	scratch_load_b32 v20, off, off offset:268 th:TH_LOAD_LU ; 4-byte Folded Reload
	s_wait_loadcnt 0x0
	ds_store_b128 v20, v[32:35]
	ds_store_b128 v20, v[4:7] offset:16
	ds_store_b128 v20, v[8:11] offset:32
	scratch_load_b32 v4, off, off offset:276 th:TH_LOAD_LU ; 4-byte Folded Reload
	v_fma_f64 v[248:249], v[71:72], s[2:3], v[28:29]
	v_fma_f64 v[24:25], v[71:72], s[10:11], v[28:29]
	;; [unrolled: 1-line block ×4, first 2 shown]
	s_wait_loadcnt 0x0
	ds_store_b128 v4, v[40:43]
	ds_store_b128 v4, v[12:15] offset:16
	ds_store_b128 v4, v[16:19] offset:32
	scratch_load_b32 v4, off, off offset:272 th:TH_LOAD_LU ; 4-byte Folded Reload
	s_wait_loadcnt 0x0
	ds_store_b128 v4, v[240:243]
	ds_store_b128 v4, v[0:3] offset:16
	ds_store_b128 v4, v[232:235] offset:32
	s_and_saveexec_b32 s1, vcc_lo
	s_cbranch_execz .LBB0_21
; %bb.20:
	scratch_load_b32 v4, off, off offset:360 th:TH_LOAD_LU ; 4-byte Folded Reload
	s_wait_loadcnt 0x0
	v_lshlrev_b32_e32 v4, 4, v4
	ds_store_b128 v4, v[244:247]
	ds_store_b128 v4, v[248:251] offset:16
	ds_store_b128 v4, v[24:27] offset:32
.LBB0_21:
	s_wait_alu 0xfffe
	s_or_b32 exec_lo, exec_lo, s1
	global_wb scope:SCOPE_SE
	s_wait_dscnt 0x0
	s_barrier_signal -1
	s_barrier_wait -1
	global_inv scope:SCOPE_SE
	ds_load_b128 v[236:239], v44
	ds_load_b128 v[228:231], v44 offset:864
	ds_load_b128 v[12:15], v44 offset:2304
	;; [unrolled: 1-line block ×11, first 2 shown]
	s_and_saveexec_b32 s1, s0
	s_cbranch_execz .LBB0_23
; %bb.22:
	ds_load_b128 v[240:243], v44 offset:1728
	ds_load_b128 v[0:3], v44 offset:4032
	;; [unrolled: 1-line block ×6, first 2 shown]
.LBB0_23:
	s_wait_alu 0xfffe
	s_or_b32 exec_lo, exec_lo, s1
	scratch_load_b128 v[49:52], off, off offset:288 th:TH_LOAD_LU ; 16-byte Folded Reload
	s_mov_b32 s10, 0xe8584caa
	s_mov_b32 s11, 0xbfebb67a
	;; [unrolled: 1-line block ×3, first 2 shown]
	s_wait_alu 0xfffe
	s_mov_b32 s2, s10
	global_wb scope:SCOPE_SE
	s_wait_loadcnt_dscnt 0x0
	s_barrier_signal -1
	s_barrier_wait -1
	global_inv scope:SCOPE_SE
	v_mul_f64_e32 v[45:46], v[51:52], v[36:37]
	s_delay_alu instid0(VALU_DEP_1) | instskip(SKIP_1) | instid1(VALU_DEP_1)
	v_fma_f64 v[45:46], v[49:50], v[38:39], -v[45:46]
	v_mul_f64_e32 v[38:39], v[51:52], v[38:39]
	v_fma_f64 v[36:37], v[49:50], v[36:37], v[38:39]
	v_mul_f64_e32 v[38:39], v[134:135], v[40:41]
	s_delay_alu instid0(VALU_DEP_1) | instskip(SKIP_1) | instid1(VALU_DEP_1)
	v_fma_f64 v[38:39], v[132:133], v[42:43], -v[38:39]
	v_mul_f64_e32 v[42:43], v[134:135], v[42:43]
	v_fma_f64 v[40:41], v[132:133], v[40:41], v[42:43]
	v_mul_f64_e32 v[42:43], v[126:127], v[28:29]
	s_delay_alu instid0(VALU_DEP_1) | instskip(SKIP_1) | instid1(VALU_DEP_1)
	v_fma_f64 v[42:43], v[124:125], v[30:31], -v[42:43]
	v_mul_f64_e32 v[30:31], v[126:127], v[30:31]
	v_fma_f64 v[57:58], v[124:125], v[28:29], v[30:31]
	v_mul_f64_e32 v[28:29], v[130:131], v[32:33]
	v_mul_f64_e32 v[30:31], v[114:115], v[246:247]
	s_delay_alu instid0(VALU_DEP_2) | instskip(SKIP_1) | instid1(VALU_DEP_3)
	v_fma_f64 v[59:60], v[128:129], v[34:35], -v[28:29]
	v_mul_f64_e32 v[28:29], v[130:131], v[34:35]
	v_fma_f64 v[30:31], v[112:113], v[244:245], v[30:31]
	s_delay_alu instid0(VALU_DEP_2) | instskip(SKIP_2) | instid1(VALU_DEP_2)
	v_fma_f64 v[61:62], v[128:129], v[32:33], v[28:29]
	v_mul_f64_e32 v[32:33], v[118:119], v[24:25]
	v_mul_f64_e32 v[28:29], v[114:115], v[244:245]
	v_fma_f64 v[32:33], v[116:117], v[26:27], -v[32:33]
	v_mul_f64_e32 v[26:27], v[118:119], v[26:27]
	s_delay_alu instid0(VALU_DEP_3) | instskip(NEXT) | instid1(VALU_DEP_2)
	v_fma_f64 v[28:29], v[112:113], v[246:247], -v[28:29]
	v_fma_f64 v[24:25], v[116:117], v[24:25], v[26:27]
	v_mul_f64_e32 v[26:27], v[110:111], v[18:19]
	s_delay_alu instid0(VALU_DEP_1) | instskip(SKIP_1) | instid1(VALU_DEP_1)
	v_fma_f64 v[26:27], v[108:109], v[16:17], v[26:27]
	v_mul_f64_e32 v[16:17], v[110:111], v[16:17]
	v_fma_f64 v[34:35], v[108:109], v[18:19], -v[16:17]
	v_mul_f64_e32 v[16:17], v[82:83], v[22:23]
	s_delay_alu instid0(VALU_DEP_1) | instskip(SKIP_1) | instid1(VALU_DEP_1)
	v_fma_f64 v[49:50], v[80:81], v[20:21], v[16:17]
	v_mul_f64_e32 v[16:17], v[82:83], v[20:21]
	v_fma_f64 v[22:23], v[80:81], v[22:23], -v[16:17]
	v_mul_f64_e32 v[16:17], v[106:107], v[12:13]
	s_delay_alu instid0(VALU_DEP_1) | instskip(SKIP_2) | instid1(VALU_DEP_2)
	v_fma_f64 v[51:52], v[104:105], v[14:15], -v[16:17]
	v_mul_f64_e32 v[14:15], v[106:107], v[14:15]
	v_add_f64_e32 v[16:17], v[238:239], v[34:35]
	v_fma_f64 v[53:54], v[104:105], v[12:13], v[14:15]
	v_mul_f64_e32 v[12:13], v[86:87], v[6:7]
	v_add_f64_e32 v[14:15], v[34:35], v[22:23]
	s_delay_alu instid0(VALU_DEP_4) | instskip(SKIP_1) | instid1(VALU_DEP_4)
	v_add_f64_e32 v[20:21], v[16:17], v[22:23]
	v_add_f64_e64 v[22:23], v[34:35], -v[22:23]
	v_fma_f64 v[63:64], v[84:85], v[4:5], v[12:13]
	v_mul_f64_e32 v[4:5], v[86:87], v[4:5]
	v_fma_f64 v[55:56], v[14:15], -0.5, v[238:239]
	v_add_f64_e32 v[14:15], v[236:237], v[26:27]
	v_mul_f64_e32 v[12:13], v[98:99], v[0:1]
	s_delay_alu instid0(VALU_DEP_4) | instskip(SKIP_1) | instid1(VALU_DEP_4)
	v_fma_f64 v[65:66], v[84:85], v[6:7], -v[4:5]
	v_mul_f64_e32 v[4:5], v[90:91], v[10:11]
	v_add_f64_e32 v[18:19], v[14:15], v[49:50]
	v_add_f64_e32 v[14:15], v[53:54], v[36:37]
	v_fma_f64 v[12:13], v[96:97], v[2:3], -v[12:13]
	v_mul_f64_e32 v[2:3], v[98:99], v[2:3]
	v_fma_f64 v[67:68], v[88:89], v[8:9], v[4:5]
	v_mul_f64_e32 v[4:5], v[90:91], v[8:9]
	v_mul_f64_e32 v[8:9], v[94:95], v[248:249]
	s_delay_alu instid0(VALU_DEP_4)
	v_fma_f64 v[0:1], v[96:97], v[0:1], v[2:3]
	v_add_f64_e32 v[2:3], v[26:27], v[49:50]
	v_add_f64_e64 v[26:27], v[26:27], -v[49:50]
	v_fma_f64 v[69:70], v[88:89], v[10:11], -v[4:5]
	v_mul_f64_e32 v[4:5], v[78:79], v[252:253]
	v_fma_f64 v[8:9], v[92:93], v[250:251], -v[8:9]
	v_fma_f64 v[2:3], v[2:3], -0.5, v[236:237]
	s_delay_alu instid0(VALU_DEP_3) | instskip(SKIP_1) | instid1(VALU_DEP_1)
	v_fma_f64 v[71:72], v[76:77], v[254:255], -v[4:5]
	v_mul_f64_e32 v[4:5], v[78:79], v[254:255]
	v_fma_f64 v[73:74], v[76:77], v[252:253], v[4:5]
	v_add_f64_e32 v[75:76], v[14:15], v[40:41]
	v_add_f64_e32 v[14:15], v[51:52], v[45:46]
	v_mul_f64_e32 v[4:5], v[102:103], v[234:235]
	s_delay_alu instid0(VALU_DEP_2) | instskip(NEXT) | instid1(VALU_DEP_4)
	v_add_f64_e32 v[77:78], v[14:15], v[38:39]
	v_add_f64_e32 v[14:15], v[18:19], v[75:76]
	v_add_f64_e64 v[18:19], v[18:19], -v[75:76]
	v_add_f64_e32 v[75:76], v[36:37], v[40:41]
	v_fma_f64 v[6:7], v[100:101], v[232:233], v[4:5]
	v_mul_f64_e32 v[4:5], v[102:103], v[232:233]
	v_add_f64_e32 v[16:17], v[20:21], v[77:78]
	v_add_f64_e64 v[20:21], v[20:21], -v[77:78]
	v_add_f64_e64 v[77:78], v[36:37], -v[40:41]
	v_add_f64_e32 v[36:37], v[45:46], v[38:39]
	v_add_f64_e64 v[45:46], v[45:46], -v[38:39]
	v_fma_f64 v[49:50], v[75:76], -0.5, v[53:54]
	s_wait_alu 0xfffe
	v_fma_f64 v[75:76], v[26:27], s[2:3], v[55:56]
	v_fma_f64 v[10:11], v[100:101], v[234:235], -v[4:5]
	v_mul_f64_e32 v[4:5], v[94:95], v[250:251]
	v_fma_f64 v[51:52], v[36:37], -0.5, v[51:52]
	v_fma_f64 v[38:39], v[45:46], s[10:11], v[49:50]
	v_fma_f64 v[45:46], v[45:46], s[2:3], v[49:50]
	s_delay_alu instid0(VALU_DEP_4) | instskip(NEXT) | instid1(VALU_DEP_4)
	v_fma_f64 v[4:5], v[92:93], v[248:249], v[4:5]
	v_fma_f64 v[34:35], v[77:78], s[2:3], v[51:52]
	;; [unrolled: 1-line block ×3, first 2 shown]
	s_delay_alu instid0(VALU_DEP_2) | instskip(SKIP_1) | instid1(VALU_DEP_3)
	v_mul_f64_e32 v[36:37], s[10:11], v[34:35]
	v_mul_f64_e32 v[34:35], 0.5, v[34:35]
	v_mul_f64_e32 v[49:50], -0.5, v[51:52]
	s_delay_alu instid0(VALU_DEP_3) | instskip(NEXT) | instid1(VALU_DEP_3)
	v_fma_f64 v[40:41], v[38:39], 0.5, v[36:37]
	v_fma_f64 v[53:54], v[38:39], s[2:3], v[34:35]
	v_fma_f64 v[38:39], v[22:23], s[10:11], v[2:3]
	;; [unrolled: 1-line block ×4, first 2 shown]
	v_mul_f64_e32 v[26:27], s[10:11], v[51:52]
	v_add_f64_e32 v[36:37], v[75:76], v[53:54]
	v_add_f64_e32 v[34:35], v[38:39], v[40:41]
	v_add_f64_e64 v[38:39], v[38:39], -v[40:41]
	v_add_f64_e64 v[40:41], v[75:76], -v[53:54]
	v_fma_f64 v[26:27], v[45:46], -0.5, v[26:27]
	v_fma_f64 v[45:46], v[45:46], s[2:3], v[49:50]
	s_delay_alu instid0(VALU_DEP_2) | instskip(NEXT) | instid1(VALU_DEP_2)
	v_add_f64_e32 v[49:50], v[2:3], v[26:27]
	v_add_f64_e32 v[51:52], v[22:23], v[45:46]
	v_add_f64_e64 v[53:54], v[2:3], -v[26:27]
	v_add_f64_e64 v[55:56], v[22:23], -v[45:46]
	ds_store_b128 v47, v[14:17]
	ds_store_b128 v47, v[34:37] offset:48
	ds_store_b128 v47, v[18:21] offset:144
	;; [unrolled: 1-line block ×5, first 2 shown]
	v_add_f64_e32 v[14:15], v[65:66], v[69:70]
	v_add_f64_e32 v[16:17], v[230:231], v[65:66]
	v_add_f64_e64 v[45:46], v[57:58], -v[61:62]
	v_add_f64_e32 v[2:3], v[63:64], v[67:68]
	v_add_f64_e64 v[51:52], v[65:66], -v[69:70]
	v_add_f64_e64 v[53:54], v[63:64], -v[67:68]
	v_fma_f64 v[22:23], v[14:15], -0.5, v[230:231]
	v_add_f64_e32 v[14:15], v[228:229], v[63:64]
	v_add_f64_e32 v[20:21], v[16:17], v[69:70]
	v_fma_f64 v[2:3], v[2:3], -0.5, v[228:229]
	s_delay_alu instid0(VALU_DEP_3) | instskip(SKIP_1) | instid1(VALU_DEP_1)
	v_add_f64_e32 v[18:19], v[14:15], v[67:68]
	v_add_f64_e32 v[14:15], v[73:74], v[57:58]
	;; [unrolled: 1-line block ×4, first 2 shown]
	s_delay_alu instid0(VALU_DEP_1) | instskip(NEXT) | instid1(VALU_DEP_3)
	v_add_f64_e32 v[34:35], v[14:15], v[59:60]
	v_add_f64_e32 v[14:15], v[18:19], v[26:27]
	v_add_f64_e64 v[18:19], v[18:19], -v[26:27]
	v_add_f64_e32 v[26:27], v[57:58], v[61:62]
	v_fma_f64 v[57:58], v[53:54], s[2:3], v[22:23]
	v_fma_f64 v[22:23], v[53:54], s[10:11], v[22:23]
	v_add_f64_e32 v[16:17], v[20:21], v[34:35]
	v_add_f64_e64 v[20:21], v[20:21], -v[34:35]
	v_add_f64_e32 v[34:35], v[42:43], v[59:60]
	v_add_f64_e64 v[42:43], v[42:43], -v[59:60]
	v_fma_f64 v[26:27], v[26:27], -0.5, v[73:74]
	s_delay_alu instid0(VALU_DEP_3) | instskip(NEXT) | instid1(VALU_DEP_2)
	v_fma_f64 v[49:50], v[34:35], -0.5, v[71:72]
	v_fma_f64 v[38:39], v[42:43], s[10:11], v[26:27]
	v_fma_f64 v[26:27], v[42:43], s[2:3], v[26:27]
	s_delay_alu instid0(VALU_DEP_3) | instskip(SKIP_1) | instid1(VALU_DEP_2)
	v_fma_f64 v[34:35], v[45:46], s[2:3], v[49:50]
	v_fma_f64 v[45:46], v[45:46], s[10:11], v[49:50]
	v_mul_f64_e32 v[36:37], s[10:11], v[34:35]
	v_mul_f64_e32 v[34:35], 0.5, v[34:35]
	s_delay_alu instid0(VALU_DEP_3) | instskip(SKIP_1) | instid1(VALU_DEP_4)
	v_mul_f64_e32 v[42:43], s[10:11], v[45:46]
	v_mul_f64_e32 v[45:46], -0.5, v[45:46]
	v_fma_f64 v[40:41], v[38:39], 0.5, v[36:37]
	s_delay_alu instid0(VALU_DEP_4)
	v_fma_f64 v[55:56], v[38:39], s[2:3], v[34:35]
	v_fma_f64 v[38:39], v[51:52], s[10:11], v[2:3]
	;; [unrolled: 1-line block ×3, first 2 shown]
	v_fma_f64 v[42:43], v[26:27], -0.5, v[42:43]
	v_fma_f64 v[26:27], v[26:27], s[2:3], v[45:46]
	v_add_f64_e32 v[36:37], v[57:58], v[55:56]
	v_add_f64_e32 v[34:35], v[38:39], v[40:41]
	v_add_f64_e64 v[38:39], v[38:39], -v[40:41]
	v_add_f64_e32 v[49:50], v[2:3], v[42:43]
	v_add_f64_e64 v[53:54], v[2:3], -v[42:43]
	scratch_load_b32 v42, off, off offset:356 th:TH_LOAD_LU ; 4-byte Folded Reload
	v_add_f64_e32 v[51:52], v[22:23], v[26:27]
	v_add_f64_e32 v[2:3], v[28:29], v[32:33]
	v_add_f64_e64 v[40:41], v[57:58], -v[55:56]
	v_add_f64_e64 v[55:56], v[22:23], -v[26:27]
	;; [unrolled: 1-line block ×4, first 2 shown]
	s_wait_loadcnt 0x0
	ds_store_b128 v42, v[14:17]
	ds_store_b128 v42, v[34:37] offset:48
	ds_store_b128 v42, v[49:52] offset:96
	;; [unrolled: 1-line block ×3, first 2 shown]
	v_add_f64_e32 v[14:15], v[30:31], v[24:25]
	v_add_f64_e32 v[16:17], v[4:5], v[6:7]
	v_add_f64_e32 v[18:19], v[8:9], v[10:11]
	v_add_f64_e64 v[20:21], v[30:31], -v[24:25]
	v_fma_f64 v[2:3], v[2:3], -0.5, v[12:13]
	ds_store_b128 v42, v[38:41] offset:192
	ds_store_b128 v42, v[53:56] offset:240
	v_add_f64_e64 v[34:35], v[6:7], -v[4:5]
	v_fma_f64 v[14:15], v[14:15], -0.5, v[0:1]
	v_fma_f64 v[16:17], v[16:17], -0.5, v[240:241]
	;; [unrolled: 1-line block ×3, first 2 shown]
	v_fma_f64 v[38:39], v[20:21], s[2:3], v[2:3]
	v_fma_f64 v[40:41], v[20:21], s[10:11], v[2:3]
	;; [unrolled: 1-line block ×8, first 2 shown]
	v_mul_f64_e32 v[16:17], s[10:11], v[38:39]
	v_mul_f64_e32 v[22:23], 0.5, v[38:39]
	v_mul_f64_e32 v[34:35], s[10:11], v[40:41]
	v_mul_f64_e32 v[36:37], -0.5, v[40:41]
	s_delay_alu instid0(VALU_DEP_4) | instskip(NEXT) | instid1(VALU_DEP_4)
	v_fma_f64 v[16:17], v[42:43], 0.5, v[16:17]
	v_fma_f64 v[26:27], v[42:43], s[2:3], v[22:23]
	s_delay_alu instid0(VALU_DEP_4) | instskip(NEXT) | instid1(VALU_DEP_4)
	v_fma_f64 v[22:23], v[45:46], -0.5, v[34:35]
	v_fma_f64 v[34:35], v[45:46], s[2:3], v[36:37]
	s_delay_alu instid0(VALU_DEP_4) | instskip(NEXT) | instid1(VALU_DEP_4)
	v_add_f64_e64 v[60:61], v[2:3], -v[16:17]
	v_add_f64_e64 v[62:63], v[18:19], -v[26:27]
	s_delay_alu instid0(VALU_DEP_4) | instskip(NEXT) | instid1(VALU_DEP_4)
	v_add_f64_e64 v[76:77], v[14:15], -v[22:23]
	v_add_f64_e64 v[78:79], v[20:21], -v[34:35]
	s_and_saveexec_b32 s1, s0
	s_cbranch_execz .LBB0_25
; %bb.24:
	v_add_f64_e32 v[10:11], v[10:11], v[242:243]
	v_add_f64_e32 v[12:13], v[28:29], v[12:13]
	;; [unrolled: 1-line block ×4, first 2 shown]
	s_delay_alu instid0(VALU_DEP_4)
	v_add_f64_e32 v[28:29], v[8:9], v[10:11]
	v_add_f64_e32 v[8:9], v[2:3], v[16:17]
	s_clause 0x1
	scratch_load_b32 v16, off, off offset:352 th:TH_LOAD_LU
	scratch_load_b32 v17, off, off offset:264 th:TH_LOAD_LU
	v_add_f64_e32 v[30:31], v[32:33], v[12:13]
	v_add_f64_e32 v[32:33], v[4:5], v[6:7]
	;; [unrolled: 1-line block ×7, first 2 shown]
	v_add_f64_e64 v[2:3], v[28:29], -v[30:31]
	v_add_f64_e32 v[12:13], v[32:33], v[0:1]
	v_add_f64_e64 v[0:1], v[32:33], -v[0:1]
	s_wait_loadcnt 0x1
	v_mul_u32_u24_e32 v16, 18, v16
	s_wait_loadcnt 0x0
	s_delay_alu instid0(VALU_DEP_1)
	v_add_lshl_u32 v16, v16, v17, 4
	ds_store_b128 v16, v[12:15]
	ds_store_b128 v16, v[8:11] offset:48
	ds_store_b128 v16, v[4:7] offset:96
	;; [unrolled: 1-line block ×5, first 2 shown]
.LBB0_25:
	s_wait_alu 0xfffe
	s_or_b32 exec_lo, exec_lo, s1
	global_wb scope:SCOPE_SE
	s_wait_dscnt 0x0
	s_barrier_signal -1
	s_barrier_wait -1
	global_inv scope:SCOPE_SE
	ds_load_b128 v[0:3], v44 offset:864
	ds_load_b128 v[4:7], v44
	scratch_load_b128 v[10:13], off, off offset:336 th:TH_LOAD_LU ; 16-byte Folded Reload
	s_mov_b32 s0, 0x667f3bcd
	s_mov_b32 s1, 0xbfe6a09e
	s_mov_b32 s3, 0x3fe6a09e
	s_wait_alu 0xfffe
	s_mov_b32 s2, s0
	s_mov_b32 s10, 0xcf328d46
	s_mov_b32 s11, 0xbfed906b
	s_mov_b32 s17, 0x3fed906b
	s_wait_alu 0xfffe
	s_mov_b32 s16, s10
	;; [unrolled: 5-line block ×3, first 2 shown]
	s_wait_loadcnt_dscnt 0x1
	v_mul_f64_e32 v[8:9], v[12:13], v[2:3]
	s_delay_alu instid0(VALU_DEP_1) | instskip(SKIP_1) | instid1(VALU_DEP_1)
	v_fma_f64 v[24:25], v[10:11], v[0:1], v[8:9]
	v_mul_f64_e32 v[0:1], v[12:13], v[0:1]
	v_fma_f64 v[26:27], v[10:11], v[2:3], -v[0:1]
	ds_load_b128 v[0:3], v44 offset:1728
	ds_load_b128 v[8:11], v44 offset:2592
	scratch_load_b128 v[14:17], off, off offset:320 th:TH_LOAD_LU ; 16-byte Folded Reload
	s_wait_loadcnt_dscnt 0x1
	v_mul_f64_e32 v[12:13], v[16:17], v[2:3]
	s_delay_alu instid0(VALU_DEP_1) | instskip(SKIP_1) | instid1(VALU_DEP_1)
	v_fma_f64 v[28:29], v[14:15], v[0:1], v[12:13]
	v_mul_f64_e32 v[0:1], v[16:17], v[0:1]
	v_fma_f64 v[30:31], v[14:15], v[2:3], -v[0:1]
	scratch_load_b128 v[12:15], off, off offset:304 th:TH_LOAD_LU ; 16-byte Folded Reload
	s_wait_loadcnt_dscnt 0x0
	v_mul_f64_e32 v[0:1], v[14:15], v[10:11]
	s_delay_alu instid0(VALU_DEP_1) | instskip(SKIP_1) | instid1(VALU_DEP_1)
	v_fma_f64 v[32:33], v[12:13], v[8:9], v[0:1]
	v_mul_f64_e32 v[0:1], v[14:15], v[8:9]
	v_fma_f64 v[34:35], v[12:13], v[10:11], -v[0:1]
	ds_load_b128 v[0:3], v44 offset:3456
	ds_load_b128 v[8:11], v44 offset:4320
	s_wait_dscnt 0x1
	v_mul_f64_e32 v[12:13], v[122:123], v[2:3]
	s_delay_alu instid0(VALU_DEP_1) | instskip(SKIP_1) | instid1(VALU_DEP_1)
	v_fma_f64 v[36:37], v[120:121], v[0:1], v[12:13]
	v_mul_f64_e32 v[0:1], v[122:123], v[0:1]
	v_fma_f64 v[38:39], v[120:121], v[2:3], -v[0:1]
	s_wait_dscnt 0x0
	v_mul_f64_e32 v[0:1], v[166:167], v[10:11]
	s_delay_alu instid0(VALU_DEP_1) | instskip(SKIP_1) | instid1(VALU_DEP_1)
	v_fma_f64 v[40:41], v[164:165], v[8:9], v[0:1]
	v_mul_f64_e32 v[0:1], v[166:167], v[8:9]
	v_fma_f64 v[42:43], v[164:165], v[10:11], -v[0:1]
	ds_load_b128 v[0:3], v44 offset:5184
	ds_load_b128 v[8:11], v44 offset:6048
	s_wait_dscnt 0x1
	v_mul_f64_e32 v[12:13], v[150:151], v[2:3]
	s_delay_alu instid0(VALU_DEP_1) | instskip(SKIP_1) | instid1(VALU_DEP_1)
	v_fma_f64 v[45:46], v[148:149], v[0:1], v[12:13]
	v_mul_f64_e32 v[0:1], v[150:151], v[0:1]
	v_fma_f64 v[49:50], v[148:149], v[2:3], -v[0:1]
	s_wait_dscnt 0x0
	v_mul_f64_e32 v[0:1], v[170:171], v[10:11]
	s_delay_alu instid0(VALU_DEP_1) | instskip(SKIP_1) | instid1(VALU_DEP_1)
	v_fma_f64 v[51:52], v[168:169], v[8:9], v[0:1]
	v_mul_f64_e32 v[0:1], v[170:171], v[8:9]
	v_fma_f64 v[53:54], v[168:169], v[10:11], -v[0:1]
	ds_load_b128 v[0:3], v44 offset:6912
	ds_load_b128 v[8:11], v44 offset:7776
	s_wait_dscnt 0x1
	v_mul_f64_e32 v[12:13], v[154:155], v[2:3]
	s_delay_alu instid0(VALU_DEP_1) | instskip(SKIP_1) | instid1(VALU_DEP_1)
	v_fma_f64 v[55:56], v[152:153], v[0:1], v[12:13]
	v_mul_f64_e32 v[0:1], v[154:155], v[0:1]
	v_fma_f64 v[57:58], v[152:153], v[2:3], -v[0:1]
	ds_load_b128 v[0:3], v44 offset:10368
	ds_load_b128 v[12:15], v44 offset:11232
	s_wait_dscnt 0x1
	v_mul_f64_e32 v[16:17], v[174:175], v[2:3]
	s_delay_alu instid0(VALU_DEP_1) | instskip(SKIP_1) | instid1(VALU_DEP_2)
	v_fma_f64 v[64:65], v[172:173], v[0:1], v[16:17]
	v_mul_f64_e32 v[0:1], v[174:175], v[0:1]
	v_add_f64_e64 v[64:65], v[36:37], -v[64:65]
	s_delay_alu instid0(VALU_DEP_2)
	v_fma_f64 v[66:67], v[172:173], v[2:3], -v[0:1]
	ds_load_b128 v[0:3], v44 offset:8640
	ds_load_b128 v[16:19], v44 offset:9504
	s_wait_dscnt 0x1
	v_mul_f64_e32 v[20:21], v[178:179], v[2:3]
	v_add_f64_e64 v[66:67], v[38:39], -v[66:67]
	s_delay_alu instid0(VALU_DEP_2) | instskip(SKIP_1) | instid1(VALU_DEP_2)
	v_fma_f64 v[68:69], v[176:177], v[0:1], v[20:21]
	v_mul_f64_e32 v[0:1], v[178:179], v[0:1]
	v_add_f64_e64 v[68:69], v[28:29], -v[68:69]
	s_delay_alu instid0(VALU_DEP_2)
	v_fma_f64 v[70:71], v[176:177], v[2:3], -v[0:1]
	ds_load_b128 v[0:3], v44 offset:12096
	ds_load_b128 v[20:23], v44 offset:12960
	global_wb scope:SCOPE_SE
	s_wait_dscnt 0x0
	s_barrier_signal -1
	s_barrier_wait -1
	global_inv scope:SCOPE_SE
	v_mul_f64_e32 v[72:73], v[182:183], v[2:3]
	v_add_f64_e64 v[70:71], v[30:31], -v[70:71]
	s_delay_alu instid0(VALU_DEP_2) | instskip(SKIP_1) | instid1(VALU_DEP_2)
	v_fma_f64 v[72:73], v[180:181], v[0:1], v[72:73]
	v_mul_f64_e32 v[0:1], v[182:183], v[0:1]
	v_add_f64_e64 v[72:73], v[45:46], -v[72:73]
	s_delay_alu instid0(VALU_DEP_2) | instskip(SKIP_1) | instid1(VALU_DEP_2)
	v_fma_f64 v[0:1], v[180:181], v[2:3], -v[0:1]
	v_mul_f64_e32 v[2:3], v[158:159], v[10:11]
	v_add_f64_e64 v[80:81], v[49:50], -v[0:1]
	s_delay_alu instid0(VALU_DEP_2) | instskip(SKIP_2) | instid1(VALU_DEP_3)
	v_fma_f64 v[2:3], v[156:157], v[8:9], v[2:3]
	v_mul_f64_e32 v[8:9], v[158:159], v[8:9]
	v_fma_f64 v[0:1], v[36:37], 2.0, -v[64:65]
	v_add_f64_e64 v[82:83], v[24:25], -v[2:3]
	s_delay_alu instid0(VALU_DEP_3) | instskip(SKIP_2) | instid1(VALU_DEP_4)
	v_fma_f64 v[8:9], v[156:157], v[10:11], -v[8:9]
	v_mul_f64_e32 v[10:11], v[162:163], v[14:15]
	v_fma_f64 v[2:3], v[38:39], 2.0, -v[66:67]
	v_fma_f64 v[24:25], v[24:25], 2.0, -v[82:83]
	s_delay_alu instid0(VALU_DEP_4) | instskip(NEXT) | instid1(VALU_DEP_4)
	v_add_f64_e64 v[84:85], v[26:27], -v[8:9]
	v_fma_f64 v[10:11], v[160:161], v[12:13], v[10:11]
	v_mul_f64_e32 v[12:13], v[162:163], v[12:13]
	s_delay_alu instid0(VALU_DEP_3) | instskip(NEXT) | instid1(VALU_DEP_3)
	v_fma_f64 v[26:27], v[26:27], 2.0, -v[84:85]
	v_add_f64_e64 v[8:9], v[40:41], -v[10:11]
	s_delay_alu instid0(VALU_DEP_3) | instskip(SKIP_1) | instid1(VALU_DEP_3)
	v_fma_f64 v[12:13], v[160:161], v[14:15], -v[12:13]
	v_mul_f64_e32 v[14:15], v[146:147], v[18:19]
	v_add_f64_e64 v[98:99], v[84:85], -v[8:9]
	s_delay_alu instid0(VALU_DEP_3) | instskip(NEXT) | instid1(VALU_DEP_3)
	v_add_f64_e64 v[10:11], v[42:43], -v[12:13]
	v_fma_f64 v[14:15], v[144:145], v[16:17], v[14:15]
	v_mul_f64_e32 v[16:17], v[146:147], v[16:17]
	s_delay_alu instid0(VALU_DEP_3) | instskip(NEXT) | instid1(VALU_DEP_3)
	v_fma_f64 v[36:37], v[42:43], 2.0, -v[10:11]
	v_add_f64_e64 v[12:13], v[32:33], -v[14:15]
	s_delay_alu instid0(VALU_DEP_3)
	v_fma_f64 v[16:17], v[144:145], v[18:19], -v[16:17]
	v_mul_f64_e32 v[18:19], v[186:187], v[20:21]
	v_add_f64_e32 v[96:97], v[82:83], v[10:11]
	v_add_f64_e64 v[36:37], v[26:27], -v[36:37]
	v_fma_f64 v[32:33], v[32:33], 2.0, -v[12:13]
	v_add_f64_e64 v[14:15], v[34:35], -v[16:17]
	v_fma_f64 v[18:19], v[184:185], v[22:23], -v[18:19]
	v_mul_f64_e32 v[22:23], v[186:187], v[22:23]
	v_fma_f64 v[82:83], v[82:83], 2.0, -v[96:97]
	s_delay_alu instid0(VALU_DEP_4) | instskip(NEXT) | instid1(VALU_DEP_4)
	v_fma_f64 v[34:35], v[34:35], 2.0, -v[14:15]
	v_add_f64_e64 v[16:17], v[53:54], -v[18:19]
	s_delay_alu instid0(VALU_DEP_4) | instskip(SKIP_2) | instid1(VALU_DEP_4)
	v_fma_f64 v[20:21], v[184:185], v[20:21], v[22:23]
	v_add_f64_e64 v[22:23], v[4:5], -v[55:56]
	v_add_f64_e64 v[55:56], v[6:7], -v[57:58]
	v_fma_f64 v[38:39], v[53:54], 2.0, -v[16:17]
	s_delay_alu instid0(VALU_DEP_4) | instskip(NEXT) | instid1(VALU_DEP_4)
	v_add_f64_e64 v[18:19], v[51:52], -v[20:21]
	v_fma_f64 v[57:58], v[4:5], 2.0, -v[22:23]
	s_delay_alu instid0(VALU_DEP_4)
	v_fma_f64 v[74:75], v[6:7], 2.0, -v[55:56]
	v_fma_f64 v[20:21], v[28:29], 2.0, -v[68:69]
	v_fma_f64 v[28:29], v[30:31], 2.0, -v[70:71]
	v_fma_f64 v[4:5], v[45:46], 2.0, -v[72:73]
	v_fma_f64 v[30:31], v[40:41], 2.0, -v[8:9]
	v_fma_f64 v[6:7], v[49:50], 2.0, -v[80:81]
	v_add_f64_e32 v[80:81], v[68:69], v[80:81]
	v_add_f64_e64 v[72:73], v[70:71], -v[72:73]
	v_add_f64_e32 v[16:17], v[12:13], v[16:17]
	v_add_f64_e64 v[38:39], v[34:35], -v[38:39]
	v_fma_f64 v[40:41], v[51:52], 2.0, -v[18:19]
	v_add_f64_e64 v[42:43], v[57:58], -v[0:1]
	v_add_f64_e64 v[45:46], v[74:75], -v[2:3]
	;; [unrolled: 1-line block ×6, first 2 shown]
	v_fma_f64 v[12:13], v[12:13], 2.0, -v[16:17]
	v_add_f64_e64 v[40:41], v[32:33], -v[40:41]
	v_fma_f64 v[10:11], v[18:19], s[2:3], v[98:99]
	v_fma_f64 v[14:15], v[14:15], 2.0, -v[18:19]
	v_add_f64_e64 v[86:87], v[45:46], -v[49:50]
	v_add_f64_e32 v[4:5], v[30:31], v[38:39]
	v_add_f64_e32 v[53:54], v[42:43], v[51:52]
	v_add_f64_e64 v[6:7], v[36:37], -v[40:41]
	v_fma_f64 v[10:11], v[16:17], s[0:1], v[10:11]
	v_fma_f64 v[92:93], v[45:46], 2.0, -v[86:87]
	v_fma_f64 v[88:89], v[30:31], 2.0, -v[4:5]
	v_fma_f64 v[0:1], v[4:5], s[2:3], v[53:54]
	v_fma_f64 v[90:91], v[42:43], 2.0, -v[53:54]
	v_fma_f64 v[42:43], v[57:58], 2.0, -v[42:43]
	;; [unrolled: 1-line block ×3, first 2 shown]
	v_fma_f64 v[2:3], v[6:7], s[2:3], v[86:87]
	v_fma_f64 v[0:1], v[6:7], s[2:3], v[0:1]
	s_delay_alu instid0(VALU_DEP_2) | instskip(SKIP_3) | instid1(VALU_DEP_3)
	v_fma_f64 v[2:3], v[4:5], s[0:1], v[2:3]
	v_fma_f64 v[4:5], v[36:37], 2.0, -v[6:7]
	v_fma_f64 v[6:7], v[88:89], s[0:1], v[90:91]
	v_fma_f64 v[36:37], v[26:27], 2.0, -v[36:37]
	v_fma_f64 v[94:95], v[4:5], s[0:1], v[92:93]
	s_delay_alu instid0(VALU_DEP_3) | instskip(NEXT) | instid1(VALU_DEP_2)
	v_fma_f64 v[4:5], v[4:5], s[2:3], v[6:7]
	v_fma_f64 v[6:7], v[88:89], s[0:1], v[94:95]
	v_add_f64_e32 v[88:89], v[22:23], v[66:67]
	v_add_f64_e64 v[94:95], v[55:56], -v[64:65]
	s_delay_alu instid0(VALU_DEP_2) | instskip(NEXT) | instid1(VALU_DEP_2)
	v_fma_f64 v[8:9], v[80:81], s[2:3], v[88:89]
	v_fma_f64 v[55:56], v[55:56], 2.0, -v[94:95]
	s_delay_alu instid0(VALU_DEP_2) | instskip(SKIP_1) | instid1(VALU_DEP_2)
	v_fma_f64 v[100:101], v[72:73], s[2:3], v[8:9]
	v_fma_f64 v[8:9], v[72:73], s[2:3], v[94:95]
	v_fma_f64 v[106:107], v[88:89], 2.0, -v[100:101]
	s_delay_alu instid0(VALU_DEP_2)
	v_fma_f64 v[102:103], v[80:81], s[0:1], v[8:9]
	v_fma_f64 v[8:9], v[16:17], s[2:3], v[96:97]
	v_fma_f64 v[16:17], v[68:69], 2.0, -v[80:81]
	v_fma_f64 v[68:69], v[84:85], 2.0, -v[98:99]
	;; [unrolled: 1-line block ×4, first 2 shown]
	v_fma_f64 v[66:67], v[10:11], s[16:17], v[102:103]
	v_fma_f64 v[8:9], v[18:19], s[2:3], v[8:9]
	;; [unrolled: 1-line block ×3, first 2 shown]
	v_fma_f64 v[108:109], v[94:95], 2.0, -v[102:103]
	s_delay_alu instid0(VALU_DEP_3) | instskip(NEXT) | instid1(VALU_DEP_3)
	v_fma_f64 v[64:65], v[8:9], s[16:17], v[100:101]
	v_fma_f64 v[70:71], v[14:15], s[2:3], v[18:19]
	;; [unrolled: 1-line block ×3, first 2 shown]
	v_fma_f64 v[18:19], v[28:29], 2.0, -v[51:52]
	s_wait_alu 0xfffe
	v_fma_f64 v[66:67], v[8:9], s[14:15], v[66:67]
	v_fma_f64 v[104:105], v[96:97], 2.0, -v[8:9]
	v_fma_f64 v[8:9], v[98:99], 2.0, -v[10:11]
	v_fma_f64 v[64:65], v[10:11], s[12:13], v[64:65]
	v_fma_f64 v[72:73], v[12:13], s[0:1], v[14:15]
	v_fma_f64 v[12:13], v[22:23], s[0:1], v[55:56]
	v_fma_f64 v[10:11], v[104:105], s[14:15], v[106:107]
	v_fma_f64 v[110:111], v[8:9], s[14:15], v[108:109]
	v_fma_f64 v[28:29], v[100:101], 2.0, -v[64:65]
	s_delay_alu instid0(VALU_DEP_4)
	v_fma_f64 v[80:81], v[16:17], s[0:1], v[12:13]
	v_fma_f64 v[12:13], v[16:17], s[0:1], v[88:89]
	v_fma_f64 v[16:17], v[20:21], 2.0, -v[49:50]
	v_fma_f64 v[49:50], v[24:25], 2.0, -v[30:31]
	;; [unrolled: 1-line block ×3, first 2 shown]
	v_add_f64_e64 v[34:35], v[45:46], -v[18:19]
	v_fma_f64 v[8:9], v[8:9], s[16:17], v[10:11]
	v_fma_f64 v[10:11], v[104:105], s[10:11], v[110:111]
	v_fma_f64 v[30:31], v[102:103], 2.0, -v[66:67]
	v_fma_f64 v[55:56], v[55:56], 2.0, -v[80:81]
	v_fma_f64 v[84:85], v[22:23], s[2:3], v[12:13]
	v_fma_f64 v[22:23], v[32:33], 2.0, -v[40:41]
	v_add_f64_e64 v[32:33], v[42:43], -v[16:17]
	v_add_f64_e64 v[38:39], v[36:37], -v[20:21]
	v_fma_f64 v[12:13], v[72:73], s[12:13], v[80:81]
	v_fma_f64 v[24:25], v[70:71], s[12:13], v[84:85]
	v_add_f64_e64 v[40:41], v[49:50], -v[22:23]
	v_fma_f64 v[51:52], v[88:89], 2.0, -v[84:85]
	v_add_f64_e32 v[16:17], v[32:33], v[38:39]
	v_fma_f64 v[14:15], v[70:71], s[10:11], v[12:13]
	v_fma_f64 v[12:13], v[72:73], s[16:17], v[24:25]
	v_add_f64_e64 v[18:19], v[34:35], -v[40:41]
	s_delay_alu instid0(VALU_DEP_4) | instskip(NEXT) | instid1(VALU_DEP_2)
	v_fma_f64 v[20:21], v[32:33], 2.0, -v[16:17]
	v_fma_f64 v[22:23], v[34:35], 2.0, -v[18:19]
	ds_store_b128 v48, v[16:19] offset:3456
	v_fma_f64 v[18:19], v[82:83], 2.0, -v[70:71]
	v_fma_f64 v[16:17], v[68:69], 2.0, -v[72:73]
	s_delay_alu instid0(VALU_DEP_2) | instskip(NEXT) | instid1(VALU_DEP_2)
	v_fma_f64 v[24:25], v[18:19], s[10:11], v[51:52]
	v_fma_f64 v[26:27], v[16:17], s[10:11], v[55:56]
	s_delay_alu instid0(VALU_DEP_2) | instskip(NEXT) | instid1(VALU_DEP_2)
	v_fma_f64 v[16:17], v[16:17], s[12:13], v[24:25]
	v_fma_f64 v[18:19], v[18:19], s[14:15], v[26:27]
	v_fma_f64 v[24:25], v[53:54], 2.0, -v[0:1]
	v_fma_f64 v[26:27], v[86:87], 2.0, -v[2:3]
	ds_store_b128 v48, v[24:27] offset:1728
	ds_store_b128 v48, v[28:31] offset:2016
	ds_store_b128 v48, v[4:7] offset:2880
	ds_store_b128 v48, v[8:11] offset:3168
	ds_store_b128 v48, v[0:3] offset:4032
	v_fma_f64 v[28:29], v[42:43], 2.0, -v[32:33]
	v_fma_f64 v[30:31], v[45:46], 2.0, -v[34:35]
	;; [unrolled: 1-line block ×12, first 2 shown]
	v_add_f64_e64 v[0:1], v[28:29], -v[0:1]
	v_add_f64_e64 v[2:3], v[30:31], -v[2:3]
	s_delay_alu instid0(VALU_DEP_2) | instskip(NEXT) | instid1(VALU_DEP_2)
	v_fma_f64 v[28:29], v[28:29], 2.0, -v[0:1]
	v_fma_f64 v[30:31], v[30:31], 2.0, -v[2:3]
	ds_store_b128 v48, v[64:67] offset:4320
	ds_store_b128 v48, v[12:15] offset:3744
	;; [unrolled: 1-line block ×8, first 2 shown]
	ds_store_b128 v48, v[28:31]
	ds_store_b128 v48, v[32:35] offset:288
	global_wb scope:SCOPE_SE
	s_wait_dscnt 0x0
	s_barrier_signal -1
	s_barrier_wait -1
	global_inv scope:SCOPE_SE
	ds_load_b128 v[4:7], v44
	ds_load_b128 v[0:3], v44 offset:864
	ds_load_b128 v[32:35], v44 offset:9216
	;; [unrolled: 1-line block ×14, first 2 shown]
	s_and_saveexec_b32 s0, vcc_lo
	s_cbranch_execz .LBB0_27
; %bb.26:
	ds_load_b128 v[64:67], v44 offset:4320
	ds_load_b128 v[60:63], v44 offset:8928
	;; [unrolled: 1-line block ×3, first 2 shown]
.LBB0_27:
	s_wait_alu 0xfffe
	s_or_b32 exec_lo, exec_lo, s0
	s_wait_dscnt 0x4
	v_mul_f64_e32 v[45:46], v[190:191], v[86:87]
	v_mul_f64_e32 v[47:48], v[194:195], v[34:35]
	;; [unrolled: 1-line block ×12, first 2 shown]
	s_wait_dscnt 0x2
	v_mul_f64_e32 v[98:99], v[214:215], v[82:83]
	v_mul_f64_e32 v[100:101], v[218:219], v[30:31]
	;; [unrolled: 1-line block ×4, first 2 shown]
	s_wait_dscnt 0x1
	v_mul_f64_e32 v[106:107], v[222:223], v[42:43]
	s_wait_dscnt 0x0
	v_mul_f64_e32 v[108:109], v[226:227], v[70:71]
	v_mul_f64_e32 v[110:111], v[222:223], v[40:41]
	;; [unrolled: 1-line block ×3, first 2 shown]
	s_mov_b32 s0, 0xe8584caa
	s_mov_b32 s1, 0xbfebb67a
	;; [unrolled: 1-line block ×3, first 2 shown]
	s_wait_alu 0xfffe
	s_mov_b32 s2, s0
	v_fma_f64 v[45:46], v[188:189], v[84:85], v[45:46]
	v_fma_f64 v[32:33], v[192:193], v[32:33], v[47:48]
	v_fma_f64 v[47:48], v[188:189], v[86:87], -v[49:50]
	v_fma_f64 v[34:35], v[192:193], v[34:35], -v[51:52]
	v_fma_f64 v[36:37], v[196:197], v[36:37], v[53:54]
	v_fma_f64 v[20:21], v[200:201], v[20:21], v[55:56]
	v_fma_f64 v[38:39], v[196:197], v[38:39], -v[57:58]
	v_fma_f64 v[22:23], v[200:201], v[22:23], -v[88:89]
	;; [unrolled: 4-line block ×5, first 2 shown]
	v_add_f64_e32 v[94:95], v[4:5], v[45:46]
	v_add_f64_e32 v[70:71], v[45:46], v[32:33]
	v_add_f64_e64 v[45:46], v[45:46], -v[32:33]
	v_add_f64_e32 v[72:73], v[47:48], v[34:35]
	v_add_f64_e64 v[96:97], v[47:48], -v[34:35]
	v_add_f64_e32 v[74:75], v[36:37], v[20:21]
	v_add_f64_e32 v[47:48], v[6:7], v[47:48]
	;; [unrolled: 1-line block ×15, first 2 shown]
	v_add_f64_e64 v[38:39], v[38:39], -v[22:23]
	v_add_f64_e64 v[36:37], v[36:37], -v[20:21]
	;; [unrolled: 1-line block ×6, first 2 shown]
	v_add_f64_e32 v[110:111], v[12:13], v[40:41]
	v_add_f64_e32 v[112:113], v[14:15], v[42:43]
	v_add_f64_e64 v[120:121], v[42:43], -v[68:69]
	v_add_f64_e64 v[122:123], v[40:41], -v[57:58]
	v_fma_f64 v[70:71], v[70:71], -0.5, v[4:5]
	v_fma_f64 v[72:73], v[72:73], -0.5, v[6:7]
	;; [unrolled: 1-line block ×3, first 2 shown]
	v_add_f64_e32 v[0:1], v[94:95], v[32:33]
	v_fma_f64 v[80:81], v[80:81], -0.5, v[2:3]
	v_add_f64_e32 v[2:3], v[47:48], v[34:35]
	v_fma_f64 v[82:83], v[82:83], -0.5, v[16:17]
	;; [unrolled: 2-line block ×7, first 2 shown]
	v_add_f64_e32 v[14:15], v[108:109], v[30:31]
	v_add_f64_e32 v[16:17], v[110:111], v[57:58]
	;; [unrolled: 1-line block ×3, first 2 shown]
	s_wait_alu 0xfffe
	v_fma_f64 v[24:25], v[96:97], s[2:3], v[70:71]
	v_fma_f64 v[20:21], v[96:97], s[0:1], v[70:71]
	;; [unrolled: 1-line block ×20, first 2 shown]
	ds_store_b128 v44, v[0:3]
	ds_store_b128 v44, v[4:7] offset:864
	ds_store_b128 v44, v[8:11] offset:1728
	;; [unrolled: 1-line block ×14, first 2 shown]
	s_and_saveexec_b32 s10, vcc_lo
	s_cbranch_execz .LBB0_29
; %bb.28:
	s_clause 0x1
	scratch_load_b128 v[8:11], off, off offset:364 th:TH_LOAD_LU
	scratch_load_b128 v[12:15], off, off offset:380 th:TH_LOAD_LU
	s_wait_loadcnt 0x1
	v_mul_f64_e32 v[0:1], v[10:11], v[60:61]
	s_wait_loadcnt 0x0
	v_mul_f64_e32 v[2:3], v[14:15], v[76:77]
	v_mul_f64_e32 v[4:5], v[10:11], v[62:63]
	;; [unrolled: 1-line block ×3, first 2 shown]
	s_delay_alu instid0(VALU_DEP_4) | instskip(NEXT) | instid1(VALU_DEP_4)
	v_fma_f64 v[0:1], v[8:9], v[62:63], -v[0:1]
	v_fma_f64 v[2:3], v[12:13], v[78:79], -v[2:3]
	s_delay_alu instid0(VALU_DEP_4) | instskip(NEXT) | instid1(VALU_DEP_4)
	v_fma_f64 v[4:5], v[8:9], v[60:61], v[4:5]
	v_fma_f64 v[6:7], v[12:13], v[76:77], v[6:7]
	s_delay_alu instid0(VALU_DEP_4) | instskip(NEXT) | instid1(VALU_DEP_4)
	v_add_f64_e32 v[14:15], v[66:67], v[0:1]
	v_add_f64_e32 v[8:9], v[0:1], v[2:3]
	v_add_f64_e64 v[16:17], v[0:1], -v[2:3]
	s_delay_alu instid0(VALU_DEP_4)
	v_add_f64_e32 v[10:11], v[4:5], v[6:7]
	v_add_f64_e64 v[12:13], v[4:5], -v[6:7]
	v_add_f64_e32 v[4:5], v[64:65], v[4:5]
	v_add_f64_e32 v[2:3], v[14:15], v[2:3]
	v_fma_f64 v[8:9], v[8:9], -0.5, v[66:67]
	v_fma_f64 v[18:19], v[10:11], -0.5, v[64:65]
	s_delay_alu instid0(VALU_DEP_4) | instskip(NEXT) | instid1(VALU_DEP_3)
	v_add_f64_e32 v[0:1], v[4:5], v[6:7]
	v_fma_f64 v[6:7], v[12:13], s[0:1], v[8:9]
	v_fma_f64 v[10:11], v[12:13], s[2:3], v[8:9]
	s_delay_alu instid0(VALU_DEP_4)
	v_fma_f64 v[8:9], v[16:17], s[0:1], v[18:19]
	v_fma_f64 v[4:5], v[16:17], s[2:3], v[18:19]
	ds_store_b128 v44, v[0:3] offset:4320
	ds_store_b128 v44, v[8:11] offset:8928
	;; [unrolled: 1-line block ×3, first 2 shown]
.LBB0_29:
	s_wait_alu 0xfffe
	s_or_b32 exec_lo, exec_lo, s10
	global_wb scope:SCOPE_SE
	s_wait_dscnt 0x0
	s_barrier_signal -1
	s_barrier_wait -1
	global_inv scope:SCOPE_SE
	ds_load_b128 v[0:3], v44
	ds_load_b128 v[4:7], v44 offset:4608
	ds_load_b128 v[8:11], v44 offset:9216
	ds_load_b128 v[12:15], v44 offset:864
	scratch_load_b64 v[16:17], off, off offset:12 th:TH_LOAD_LU ; 8-byte Folded Reload
	s_mov_b32 s2, 0xbda12f68
	s_mov_b32 s3, 0x3f52f684
	s_mul_u64 s[0:1], s[4:5], 0x120
	s_wait_alu 0xfffe
	s_lshl_b64 s[10:11], s[0:1], 4
	s_wait_loadcnt 0x0
	v_mov_b32_e32 v84, v16
	ds_load_b128 v[16:19], v44 offset:10080
	ds_load_b128 v[20:23], v44 offset:3456
	s_clause 0x4
	scratch_load_b128 v[98:101], off, off offset:120 th:TH_LOAD_LU
	scratch_load_b128 v[94:97], off, off offset:104 th:TH_LOAD_LU
	scratch_load_b32 v85, off, off th:TH_LOAD_LU
	scratch_load_b32 v89, off, off offset:84 th:TH_LOAD_LU
	scratch_load_b128 v[90:93], off, off offset:88 th:TH_LOAD_LU
	ds_load_b128 v[24:27], v44 offset:5472
	v_mad_co_u64_u32 v[62:63], null, s6, v84, 0
	s_mul_i32 s6, s5, 0xfffff160
	s_wait_alu 0xfffe
	s_sub_co_i32 s1, s6, s4
	s_delay_alu instid0(VALU_DEP_1)
	v_mov_b32_e32 v45, v63
	s_wait_loadcnt_dscnt 0x406
	v_mul_f64_e32 v[64:65], v[100:101], v[2:3]
	v_mul_f64_e32 v[66:67], v[100:101], v[0:1]
	scratch_load_b128 v[100:103], off, off offset:216 th:TH_LOAD_LU ; 16-byte Folded Reload
	ds_load_b128 v[28:31], v44 offset:6336
	ds_load_b128 v[32:35], v44 offset:1728
	;; [unrolled: 1-line block ×8, first 2 shown]
	s_clause 0x2
	scratch_load_b128 v[118:121], off, off offset:36 th:TH_LOAD_LU
	scratch_load_b128 v[114:117], off, off offset:20 th:TH_LOAD_LU
	;; [unrolled: 1-line block ×3, first 2 shown]
	s_wait_loadcnt_dscnt 0x70c
	v_mul_f64_e32 v[72:73], v[96:97], v[10:11]
	s_wait_loadcnt 0x6
	v_mad_co_u64_u32 v[80:81], null, s4, v85, 0
	s_wait_loadcnt 0x5
	v_mad_co_u64_u32 v[82:83], null, s4, v89, 0
	v_mul_f64_e32 v[74:75], v[96:97], v[8:9]
	scratch_load_b128 v[132:135], off, off offset:168 th:TH_LOAD_LU ; 16-byte Folded Reload
	s_wait_loadcnt_dscnt 0x50b
	v_mul_f64_e32 v[76:77], v[92:93], v[14:15]
	v_mul_f64_e32 v[78:79], v[92:93], v[12:13]
	v_mov_b32_e32 v63, v81
	v_mov_b32_e32 v81, v83
	s_wait_dscnt 0x3
	v_mad_co_u64_u32 v[83:84], null, s7, v84, v[45:46]
	s_delay_alu instid0(VALU_DEP_3)
	v_mad_co_u64_u32 v[84:85], null, s5, v85, v[63:64]
	v_fma_f64 v[0:1], v[98:99], v[0:1], v[64:65]
	v_mad_co_u64_u32 v[64:65], null, s5, v89, v[81:82]
	v_fma_f64 v[2:3], v[98:99], v[2:3], -v[66:67]
	v_mov_b32_e32 v63, v83
	v_fma_f64 v[8:9], v[94:95], v[8:9], v[72:73]
	v_mov_b32_e32 v81, v84
	s_delay_alu instid0(VALU_DEP_3)
	v_lshlrev_b64_e32 v[62:63], 4, v[62:63]
	v_fma_f64 v[10:11], v[94:95], v[10:11], -v[74:75]
	v_mov_b32_e32 v83, v64
	v_fma_f64 v[12:13], v[90:91], v[12:13], v[76:77]
	v_fma_f64 v[14:15], v[90:91], v[14:15], -v[78:79]
	v_lshlrev_b64_e32 v[79:80], 4, v[80:81]
	v_add_co_u32 v45, s0, s8, v62
	s_wait_alu 0xf1ff
	v_add_co_ci_u32_e64 v113, s0, s9, v63, s0
	v_lshlrev_b64_e32 v[81:82], 4, v[82:83]
	s_delay_alu instid0(VALU_DEP_3) | instskip(SKIP_1) | instid1(VALU_DEP_3)
	v_add_co_u32 v79, s0, v45, v79
	s_wait_alu 0xf1ff
	v_add_co_ci_u32_e64 v80, s0, v113, v80, s0
	s_delay_alu instid0(VALU_DEP_2)
	v_add_co_u32 v84, s0, v79, s10
	v_mul_f64_e32 v[0:1], s[2:3], v[0:1]
	v_mul_f64_e32 v[2:3], s[2:3], v[2:3]
	;; [unrolled: 1-line block ×6, first 2 shown]
	s_wait_loadcnt 0x4
	v_mul_f64_e32 v[68:69], v[102:103], v[6:7]
	v_mul_f64_e32 v[70:71], v[102:103], v[4:5]
	s_wait_loadcnt 0x3
	v_mul_f64_e32 v[85:86], v[120:121], v[26:27]
	v_mul_f64_e32 v[87:88], v[120:121], v[24:25]
	scratch_load_b128 v[120:123], off, off offset:52 th:TH_LOAD_LU ; 16-byte Folded Reload
	s_wait_loadcnt 0x3
	v_mul_f64_e32 v[65:66], v[116:117], v[18:19]
	v_fma_f64 v[4:5], v[100:101], v[4:5], v[68:69]
	v_fma_f64 v[6:7], v[100:101], v[6:7], -v[70:71]
	s_wait_loadcnt 0x2
	v_mul_f64_e32 v[69:70], v[126:127], v[34:35]
	v_mul_f64_e32 v[71:72], v[126:127], v[32:33]
	scratch_load_b128 v[126:129], off, off offset:136 th:TH_LOAD_LU ; 16-byte Folded Reload
	s_wait_loadcnt 0x2
	v_mul_f64_e32 v[77:78], v[134:135], v[42:43]
	v_mul_f64_e32 v[89:90], v[134:135], v[40:41]
	;; [unrolled: 1-line block ×3, first 2 shown]
	v_fma_f64 v[24:25], v[118:119], v[24:25], v[85:86]
	v_fma_f64 v[26:27], v[118:119], v[26:27], -v[87:88]
	v_fma_f64 v[64:65], v[114:115], v[16:17], v[65:66]
	s_wait_alu 0xf1ff
	v_add_co_ci_u32_e64 v85, s0, s11, v80, s0
	scratch_load_b128 v[134:137], off, off offset:184 th:TH_LOAD_LU ; 16-byte Folded Reload
	v_mad_co_u64_u32 v[86:87], null, 0xfffff160, s4, v[84:85]
	s_wait_alu 0xfffe
	s_delay_alu instid0(VALU_DEP_1)
	v_add_nc_u32_e32 v87, s1, v87
	v_mul_f64_e32 v[4:5], s[2:3], v[4:5]
	v_mul_f64_e32 v[6:7], s[2:3], v[6:7]
	v_fma_f64 v[32:33], v[124:125], v[32:33], v[69:70]
	v_fma_f64 v[34:35], v[124:125], v[34:35], -v[71:72]
	v_fma_f64 v[40:41], v[132:133], v[40:41], v[77:78]
	v_fma_f64 v[42:43], v[132:133], v[42:43], -v[89:90]
	v_fma_f64 v[66:67], v[114:115], v[18:19], -v[67:68]
	v_add_co_u32 v68, s0, v45, v81
	s_wait_alu 0xf1ff
	v_add_co_ci_u32_e64 v69, s0, v113, v82, s0
	v_mul_f64_e32 v[16:17], s[2:3], v[24:25]
	v_mul_f64_e32 v[18:19], s[2:3], v[26:27]
	s_wait_loadcnt 0x2
	v_mul_f64_e32 v[73:74], v[122:123], v[30:31]
	v_mul_f64_e32 v[75:76], v[122:123], v[28:29]
	s_wait_loadcnt 0x1
	v_mul_f64_e32 v[91:92], v[128:129], v[38:39]
	v_mul_f64_e32 v[93:94], v[128:129], v[36:37]
	scratch_load_b128 v[128:131], off, off offset:152 th:TH_LOAD_LU ; 16-byte Folded Reload
	v_fma_f64 v[28:29], v[120:121], v[28:29], v[73:74]
	v_fma_f64 v[30:31], v[120:121], v[30:31], -v[75:76]
	s_wait_loadcnt 0x1
	v_mul_f64_e32 v[99:100], v[136:137], v[48:49]
	v_mul_f64_e32 v[101:102], v[136:137], v[46:47]
	scratch_load_b128 v[136:139], off, off offset:200 th:TH_LOAD_LU ; 16-byte Folded Reload
	v_fma_f64 v[36:37], v[126:127], v[36:37], v[91:92]
	v_fma_f64 v[38:39], v[126:127], v[38:39], -v[93:94]
	v_fma_f64 v[45:46], v[134:135], v[46:47], v[99:100]
	v_fma_f64 v[47:48], v[134:135], v[48:49], -v[101:102]
	s_wait_loadcnt_dscnt 0x102
	v_mul_f64_e32 v[95:96], v[130:131], v[52:53]
	v_mul_f64_e32 v[97:98], v[130:131], v[50:51]
	s_wait_loadcnt 0x0
	v_mul_f64_e32 v[103:104], v[138:139], v[22:23]
	v_mul_f64_e32 v[105:106], v[138:139], v[20:21]
	scratch_load_b128 v[138:141], off, off offset:232 th:TH_LOAD_LU ; 16-byte Folded Reload
	v_fma_f64 v[50:51], v[128:129], v[50:51], v[95:96]
	v_fma_f64 v[52:53], v[128:129], v[52:53], -v[97:98]
	v_fma_f64 v[70:71], v[136:137], v[22:23], -v[105:106]
	v_mul_f64_e32 v[22:23], s[2:3], v[38:39]
	s_delay_alu instid0(VALU_DEP_4) | instskip(NEXT) | instid1(VALU_DEP_4)
	v_mul_f64_e32 v[24:25], s[2:3], v[50:51]
	v_mul_f64_e32 v[26:27], s[2:3], v[52:53]
	s_wait_loadcnt_dscnt 0x1
	v_mul_f64_e32 v[107:108], v[140:141], v[56:57]
	v_mul_f64_e32 v[109:110], v[140:141], v[54:55]
	scratch_load_b128 v[140:143], off, off offset:248 th:TH_LOAD_LU ; 16-byte Folded Reload
	s_clause 0x3
	global_store_b128 v[79:80], v[0:3], off
	global_store_b128 v[84:85], v[4:7], off
	;; [unrolled: 1-line block ×4, first 2 shown]
	v_fma_f64 v[68:69], v[136:137], v[20:21], v[103:104]
	v_mul_f64_e32 v[0:1], s[2:3], v[64:65]
	v_mul_f64_e32 v[2:3], s[2:3], v[66:67]
	v_mul_f64_e32 v[4:5], s[2:3], v[32:33]
	v_mul_f64_e32 v[6:7], s[2:3], v[34:35]
	v_mul_f64_e32 v[8:9], s[2:3], v[28:29]
	v_mul_f64_e32 v[10:11], s[2:3], v[30:31]
	v_mul_f64_e32 v[12:13], s[2:3], v[40:41]
	v_mul_f64_e32 v[14:15], s[2:3], v[42:43]
	v_mul_f64_e32 v[20:21], s[2:3], v[36:37]
	v_mul_f64_e32 v[28:29], s[2:3], v[45:46]
	v_mul_f64_e32 v[30:31], s[2:3], v[47:48]
	v_mul_f64_e32 v[34:35], s[2:3], v[70:71]
	v_fma_f64 v[54:55], v[138:139], v[54:55], v[107:108]
	v_fma_f64 v[56:57], v[138:139], v[56:57], -v[109:110]
	v_mul_f64_e32 v[32:33], s[2:3], v[68:69]
	s_delay_alu instid0(VALU_DEP_3) | instskip(NEXT) | instid1(VALU_DEP_3)
	v_mul_f64_e32 v[36:37], s[2:3], v[54:55]
	v_mul_f64_e32 v[38:39], s[2:3], v[56:57]
	s_wait_loadcnt_dscnt 0x0
	v_mul_f64_e32 v[111:112], v[142:143], v[60:61]
	v_mul_f64_e32 v[62:63], v[142:143], v[58:59]
	s_delay_alu instid0(VALU_DEP_2) | instskip(NEXT) | instid1(VALU_DEP_2)
	v_fma_f64 v[58:59], v[140:141], v[58:59], v[111:112]
	v_fma_f64 v[60:61], v[140:141], v[60:61], -v[62:63]
	v_add_co_u32 v62, s0, v86, s10
	s_wait_alu 0xf1ff
	v_add_co_ci_u32_e64 v63, s0, s11, v87, s0
	s_delay_alu instid0(VALU_DEP_2) | instskip(SKIP_1) | instid1(VALU_DEP_2)
	v_add_co_u32 v64, s0, v62, s10
	s_wait_alu 0xf1ff
	v_add_co_ci_u32_e64 v65, s0, s11, v63, s0
	global_store_b128 v[62:63], v[16:19], off
	s_movk_i32 s0, 0xfdf6
	s_mov_b32 s1, -1
	global_store_b128 v[64:65], v[0:3], off
	s_wait_alu 0xfffe
	s_mul_u64 s[0:1], s[4:5], s[0:1]
	s_wait_alu 0xfffe
	s_lshl_b64 s[4:5], s[0:1], 4
	s_wait_alu 0xfffe
	v_add_co_u32 v66, s0, v64, s4
	s_wait_alu 0xf1ff
	v_add_co_ci_u32_e64 v67, s0, s5, v65, s0
	s_delay_alu instid0(VALU_DEP_2) | instskip(SKIP_1) | instid1(VALU_DEP_2)
	v_add_co_u32 v72, s0, v66, s10
	s_wait_alu 0xf1ff
	v_add_co_ci_u32_e64 v73, s0, s11, v67, s0
	global_store_b128 v[66:67], v[4:7], off
	v_add_co_u32 v45, s0, v72, s10
	s_wait_alu 0xf1ff
	v_add_co_ci_u32_e64 v46, s0, s11, v73, s0
	global_store_b128 v[72:73], v[8:11], off
	;; [unrolled: 4-line block ×4, first 2 shown]
	v_mul_f64_e32 v[40:41], s[2:3], v[58:59]
	v_mul_f64_e32 v[42:43], s[2:3], v[60:61]
	v_add_co_u32 v4, s0, v2, s10
	s_wait_alu 0xf1ff
	v_add_co_ci_u32_e64 v5, s0, s11, v3, s0
	s_delay_alu instid0(VALU_DEP_2) | instskip(SKIP_1) | instid1(VALU_DEP_2)
	v_add_co_u32 v6, s0, v4, s4
	s_wait_alu 0xf1ff
	v_add_co_ci_u32_e64 v7, s0, s5, v5, s0
	s_delay_alu instid0(VALU_DEP_2) | instskip(SKIP_1) | instid1(VALU_DEP_2)
	;; [unrolled: 4-line block ×3, first 2 shown]
	v_add_co_u32 v0, s0, v8, s10
	s_wait_alu 0xf1ff
	v_add_co_ci_u32_e64 v1, s0, s11, v9, s0
	global_store_b128 v[2:3], v[24:27], off
	global_store_b128 v[4:5], v[28:31], off
	;; [unrolled: 1-line block ×5, first 2 shown]
	s_and_b32 exec_lo, exec_lo, vcc_lo
	s_cbranch_execz .LBB0_31
; %bb.30:
	scratch_load_b64 v[16:17], off, off offset:4 th:TH_LOAD_LU ; 8-byte Folded Reload
	s_wait_loadcnt 0x0
	global_load_b128 v[2:5], v[16:17], off offset:4320
	ds_load_b128 v[6:9], v44 offset:4320
	ds_load_b128 v[10:13], v44 offset:8928
	s_wait_loadcnt_dscnt 0x1
	v_mul_f64_e32 v[14:15], v[8:9], v[4:5]
	v_mul_f64_e32 v[4:5], v[6:7], v[4:5]
	s_delay_alu instid0(VALU_DEP_2) | instskip(NEXT) | instid1(VALU_DEP_2)
	v_fma_f64 v[6:7], v[6:7], v[2:3], v[14:15]
	v_fma_f64 v[4:5], v[2:3], v[8:9], -v[4:5]
	s_delay_alu instid0(VALU_DEP_2) | instskip(NEXT) | instid1(VALU_DEP_2)
	v_mul_f64_e32 v[2:3], s[2:3], v[6:7]
	v_mul_f64_e32 v[4:5], s[2:3], v[4:5]
	v_add_co_u32 v6, vcc_lo, v0, s4
	s_wait_alu 0xfffd
	v_add_co_ci_u32_e32 v7, vcc_lo, s5, v1, vcc_lo
	s_delay_alu instid0(VALU_DEP_2) | instskip(SKIP_1) | instid1(VALU_DEP_2)
	v_add_co_u32 v8, vcc_lo, v6, s10
	s_wait_alu 0xfffd
	v_add_co_ci_u32_e32 v9, vcc_lo, s11, v7, vcc_lo
	global_store_b128 v[6:7], v[2:5], off
	global_load_b128 v[0:3], v[16:17], off offset:8928
	s_wait_loadcnt_dscnt 0x0
	v_mul_f64_e32 v[4:5], v[12:13], v[2:3]
	v_mul_f64_e32 v[2:3], v[10:11], v[2:3]
	s_delay_alu instid0(VALU_DEP_2) | instskip(NEXT) | instid1(VALU_DEP_2)
	v_fma_f64 v[4:5], v[10:11], v[0:1], v[4:5]
	v_fma_f64 v[2:3], v[0:1], v[12:13], -v[2:3]
	s_delay_alu instid0(VALU_DEP_2) | instskip(NEXT) | instid1(VALU_DEP_2)
	v_mul_f64_e32 v[0:1], s[2:3], v[4:5]
	v_mul_f64_e32 v[2:3], s[2:3], v[2:3]
	ds_load_b128 v[4:7], v44 offset:13536
	global_store_b128 v[8:9], v[0:3], off
	global_load_b128 v[0:3], v[16:17], off offset:13536
	s_wait_loadcnt_dscnt 0x0
	v_mul_f64_e32 v[10:11], v[6:7], v[2:3]
	v_mul_f64_e32 v[2:3], v[4:5], v[2:3]
	s_delay_alu instid0(VALU_DEP_2) | instskip(NEXT) | instid1(VALU_DEP_2)
	v_fma_f64 v[4:5], v[4:5], v[0:1], v[10:11]
	v_fma_f64 v[2:3], v[0:1], v[6:7], -v[2:3]
	s_delay_alu instid0(VALU_DEP_2) | instskip(NEXT) | instid1(VALU_DEP_2)
	v_mul_f64_e32 v[0:1], s[2:3], v[4:5]
	v_mul_f64_e32 v[2:3], s[2:3], v[2:3]
	v_add_co_u32 v4, vcc_lo, v8, s10
	s_wait_alu 0xfffd
	v_add_co_ci_u32_e32 v5, vcc_lo, s11, v9, vcc_lo
	global_store_b128 v[4:5], v[0:3], off
.LBB0_31:
	s_nop 0
	s_sendmsg sendmsg(MSG_DEALLOC_VGPRS)
	s_endpgm
	.section	.rodata,"a",@progbits
	.p2align	6, 0x0
	.amdhsa_kernel bluestein_single_back_len864_dim1_dp_op_CI_CI
		.amdhsa_group_segment_fixed_size 13824
		.amdhsa_private_segment_fixed_size 400
		.amdhsa_kernarg_size 104
		.amdhsa_user_sgpr_count 2
		.amdhsa_user_sgpr_dispatch_ptr 0
		.amdhsa_user_sgpr_queue_ptr 0
		.amdhsa_user_sgpr_kernarg_segment_ptr 1
		.amdhsa_user_sgpr_dispatch_id 0
		.amdhsa_user_sgpr_private_segment_size 0
		.amdhsa_wavefront_size32 1
		.amdhsa_uses_dynamic_stack 0
		.amdhsa_enable_private_segment 1
		.amdhsa_system_sgpr_workgroup_id_x 1
		.amdhsa_system_sgpr_workgroup_id_y 0
		.amdhsa_system_sgpr_workgroup_id_z 0
		.amdhsa_system_sgpr_workgroup_info 0
		.amdhsa_system_vgpr_workitem_id 0
		.amdhsa_next_free_vgpr 256
		.amdhsa_next_free_sgpr 24
		.amdhsa_reserve_vcc 1
		.amdhsa_float_round_mode_32 0
		.amdhsa_float_round_mode_16_64 0
		.amdhsa_float_denorm_mode_32 3
		.amdhsa_float_denorm_mode_16_64 3
		.amdhsa_fp16_overflow 0
		.amdhsa_workgroup_processor_mode 1
		.amdhsa_memory_ordered 1
		.amdhsa_forward_progress 0
		.amdhsa_round_robin_scheduling 0
		.amdhsa_exception_fp_ieee_invalid_op 0
		.amdhsa_exception_fp_denorm_src 0
		.amdhsa_exception_fp_ieee_div_zero 0
		.amdhsa_exception_fp_ieee_overflow 0
		.amdhsa_exception_fp_ieee_underflow 0
		.amdhsa_exception_fp_ieee_inexact 0
		.amdhsa_exception_int_div_zero 0
	.end_amdhsa_kernel
	.text
.Lfunc_end0:
	.size	bluestein_single_back_len864_dim1_dp_op_CI_CI, .Lfunc_end0-bluestein_single_back_len864_dim1_dp_op_CI_CI
                                        ; -- End function
	.section	.AMDGPU.csdata,"",@progbits
; Kernel info:
; codeLenInByte = 19452
; NumSgprs: 26
; NumVgprs: 256
; ScratchSize: 400
; MemoryBound: 0
; FloatMode: 240
; IeeeMode: 1
; LDSByteSize: 13824 bytes/workgroup (compile time only)
; SGPRBlocks: 3
; VGPRBlocks: 31
; NumSGPRsForWavesPerEU: 26
; NumVGPRsForWavesPerEU: 256
; Occupancy: 5
; WaveLimiterHint : 1
; COMPUTE_PGM_RSRC2:SCRATCH_EN: 1
; COMPUTE_PGM_RSRC2:USER_SGPR: 2
; COMPUTE_PGM_RSRC2:TRAP_HANDLER: 0
; COMPUTE_PGM_RSRC2:TGID_X_EN: 1
; COMPUTE_PGM_RSRC2:TGID_Y_EN: 0
; COMPUTE_PGM_RSRC2:TGID_Z_EN: 0
; COMPUTE_PGM_RSRC2:TIDIG_COMP_CNT: 0
	.text
	.p2alignl 7, 3214868480
	.fill 96, 4, 3214868480
	.type	__hip_cuid_77f60cb0007a8fa,@object ; @__hip_cuid_77f60cb0007a8fa
	.section	.bss,"aw",@nobits
	.globl	__hip_cuid_77f60cb0007a8fa
__hip_cuid_77f60cb0007a8fa:
	.byte	0                               ; 0x0
	.size	__hip_cuid_77f60cb0007a8fa, 1

	.ident	"AMD clang version 19.0.0git (https://github.com/RadeonOpenCompute/llvm-project roc-6.4.0 25133 c7fe45cf4b819c5991fe208aaa96edf142730f1d)"
	.section	".note.GNU-stack","",@progbits
	.addrsig
	.addrsig_sym __hip_cuid_77f60cb0007a8fa
	.amdgpu_metadata
---
amdhsa.kernels:
  - .args:
      - .actual_access:  read_only
        .address_space:  global
        .offset:         0
        .size:           8
        .value_kind:     global_buffer
      - .actual_access:  read_only
        .address_space:  global
        .offset:         8
        .size:           8
        .value_kind:     global_buffer
      - .actual_access:  read_only
        .address_space:  global
        .offset:         16
        .size:           8
        .value_kind:     global_buffer
      - .actual_access:  read_only
        .address_space:  global
        .offset:         24
        .size:           8
        .value_kind:     global_buffer
      - .actual_access:  read_only
        .address_space:  global
        .offset:         32
        .size:           8
        .value_kind:     global_buffer
      - .offset:         40
        .size:           8
        .value_kind:     by_value
      - .address_space:  global
        .offset:         48
        .size:           8
        .value_kind:     global_buffer
      - .address_space:  global
        .offset:         56
        .size:           8
        .value_kind:     global_buffer
      - .address_space:  global
        .offset:         64
        .size:           8
        .value_kind:     global_buffer
      - .address_space:  global
        .offset:         72
        .size:           8
        .value_kind:     global_buffer
      - .offset:         80
        .size:           4
        .value_kind:     by_value
      - .address_space:  global
        .offset:         88
        .size:           8
        .value_kind:     global_buffer
      - .address_space:  global
        .offset:         96
        .size:           8
        .value_kind:     global_buffer
    .group_segment_fixed_size: 13824
    .kernarg_segment_align: 8
    .kernarg_segment_size: 104
    .language:       OpenCL C
    .language_version:
      - 2
      - 0
    .max_flat_workgroup_size: 54
    .name:           bluestein_single_back_len864_dim1_dp_op_CI_CI
    .private_segment_fixed_size: 400
    .sgpr_count:     26
    .sgpr_spill_count: 0
    .symbol:         bluestein_single_back_len864_dim1_dp_op_CI_CI.kd
    .uniform_work_group_size: 1
    .uses_dynamic_stack: false
    .vgpr_count:     256
    .vgpr_spill_count: 99
    .wavefront_size: 32
    .workgroup_processor_mode: 1
amdhsa.target:   amdgcn-amd-amdhsa--gfx1201
amdhsa.version:
  - 1
  - 2
...

	.end_amdgpu_metadata
